;; amdgpu-corpus repo=ROCm/rocFFT kind=compiled arch=gfx950 opt=O3
	.text
	.amdgcn_target "amdgcn-amd-amdhsa--gfx950"
	.amdhsa_code_object_version 6
	.protected	bluestein_single_fwd_len561_dim1_dp_op_CI_CI ; -- Begin function bluestein_single_fwd_len561_dim1_dp_op_CI_CI
	.globl	bluestein_single_fwd_len561_dim1_dp_op_CI_CI
	.p2align	8
	.type	bluestein_single_fwd_len561_dim1_dp_op_CI_CI,@function
bluestein_single_fwd_len561_dim1_dp_op_CI_CI: ; @bluestein_single_fwd_len561_dim1_dp_op_CI_CI
; %bb.0:
	s_load_dwordx4 s[4:7], s[0:1], 0x28
	v_mul_u32_u24_e32 v1, 0x506, v0
	v_lshrrev_b32_e32 v2, 16, v1
	v_mad_u64_u32 v[4:5], s[2:3], s2, 5, v[2:3]
	v_mov_b32_e32 v5, 0
	s_waitcnt lgkmcnt(0)
	v_cmp_gt_u64_e32 vcc, s[4:5], v[4:5]
	s_and_saveexec_b64 s[2:3], vcc
	s_cbranch_execz .LBB0_23
; %bb.1:
	v_mul_lo_u16_e32 v1, 51, v2
	s_mov_b32 s2, 0xcccccccd
	v_sub_u16_e32 v2, v0, v1
	v_mul_hi_u32 v0, v4, s2
	v_lshrrev_b32_e32 v0, 2, v0
	s_load_dwordx2 s[12:13], s[0:1], 0x0
	s_load_dwordx2 s[14:15], s[0:1], 0x38
	v_lshl_add_u32 v0, v0, 2, v0
	v_sub_u32_e32 v0, v4, v0
	v_mul_u32_u24_e32 v1, 0x231, v0
	v_lshlrev_b32_e32 v0, 4, v2
	v_accvgpr_write_b32 a0, v0
	v_lshlrev_b32_e32 v0, 4, v1
	v_accvgpr_write_b32 a2, v4
	v_cmp_gt_u16_e64 s[4:5], 33, v2
	v_accvgpr_write_b32 a4, v2
	v_accvgpr_write_b32 a58, v1
	;; [unrolled: 1-line block ×3, first 2 shown]
	s_and_saveexec_b64 s[2:3], s[4:5]
	s_cbranch_execz .LBB0_3
; %bb.2:
	s_load_dwordx2 s[8:9], s[0:1], 0x18
	v_accvgpr_read_b32 v10, a2
	v_mov_b32_e32 v0, s6
	v_mov_b32_e32 v1, s7
	v_accvgpr_read_b32 v138, a4
	s_waitcnt lgkmcnt(0)
	s_load_dwordx4 s[8:11], s[8:9], 0x0
	v_accvgpr_read_b32 v142, a0
	v_mov_b32_e32 v143, 0
	v_mov_b32_e32 v38, 0x210
	v_lshl_add_u64 v[52:53], s[12:13], 0, v[142:143]
	s_waitcnt lgkmcnt(0)
	v_mad_u64_u32 v[2:3], s[6:7], s10, v10, 0
	v_mad_u64_u32 v[4:5], s[6:7], s8, v138, 0
	v_mov_b32_e32 v6, v3
	v_mov_b32_e32 v8, v5
	v_mad_u64_u32 v[6:7], s[6:7], s11, v10, v[6:7]
	v_mov_b32_e32 v3, v6
	v_mad_u64_u32 v[6:7], s[6:7], s9, v138, v[8:9]
	v_mov_b32_e32 v5, v6
	v_lshl_add_u64 v[0:1], v[2:3], 4, v[0:1]
	v_lshl_add_u64 v[36:37], v[4:5], 4, v[0:1]
	s_movk_i32 s6, 0x1000
	global_load_dwordx4 v[0:3], v142, s[12:13]
	global_load_dwordx4 v[4:7], v[36:37], off
	v_add_co_u32_e32 v132, vcc, s6, v52
	s_mulk_i32 s9, 0x210
	v_mad_u64_u32 v[36:37], s[6:7], s8, v38, v[36:37]
	v_add_u32_e32 v37, s9, v37
	global_load_dwordx4 v[8:11], v142, s[12:13] offset:528
	global_load_dwordx4 v[12:15], v142, s[12:13] offset:1056
	;; [unrolled: 1-line block ×7, first 2 shown]
	global_load_dwordx4 v[40:43], v[36:37], off
	v_mad_u64_u32 v[36:37], s[6:7], s8, v38, v[36:37]
	v_add_u32_e32 v37, s9, v37
	global_load_dwordx4 v[44:47], v[36:37], off
	v_mad_u64_u32 v[36:37], s[6:7], s8, v38, v[36:37]
	v_add_u32_e32 v37, s9, v37
	s_movk_i32 s10, 0x2000
	v_addc_co_u32_e32 v133, vcc, 0, v53, vcc
	global_load_dwordx4 v[48:51], v[36:37], off
	v_mad_u64_u32 v[36:37], s[6:7], s8, v38, v[36:37]
	v_add_co_u32_e32 v92, vcc, s10, v52
	v_add_u32_e32 v37, s9, v37
	s_nop 0
	v_addc_co_u32_e32 v93, vcc, 0, v53, vcc
	global_load_dwordx4 v[52:55], v[36:37], off
	v_mad_u64_u32 v[36:37], s[6:7], s8, v38, v[36:37]
	v_add_u32_e32 v37, s9, v37
	global_load_dwordx4 v[56:59], v[36:37], off
	global_load_dwordx4 v[60:63], v[132:133], off offset:128
	global_load_dwordx4 v[64:67], v[132:133], off offset:656
	v_mad_u64_u32 v[36:37], s[6:7], s8, v38, v[36:37]
	v_add_u32_e32 v37, s9, v37
	global_load_dwordx4 v[68:71], v[36:37], off
	v_mad_u64_u32 v[36:37], s[6:7], s8, v38, v[36:37]
	v_add_u32_e32 v37, s9, v37
	global_load_dwordx4 v[72:75], v[36:37], off
	global_load_dwordx4 v[76:79], v[132:133], off offset:1184
	global_load_dwordx4 v[80:83], v[132:133], off offset:1712
	v_mad_u64_u32 v[36:37], s[6:7], s8, v38, v[36:37]
	v_add_u32_e32 v37, s9, v37
	global_load_dwordx4 v[84:87], v[36:37], off
	global_load_dwordx4 v[88:91], v[92:93], off offset:256
	v_mad_u64_u32 v[36:37], s[6:7], s8, v38, v[36:37]
	v_add_u32_e32 v37, s9, v37
	global_load_dwordx4 v[92:95], v[36:37], off
	v_mad_u64_u32 v[36:37], s[6:7], s8, v38, v[36:37]
	v_add_u32_e32 v37, s9, v37
	global_load_dwordx4 v[96:99], v[36:37], off
	;; [unrolled: 3-line block ×4, first 2 shown]
	global_load_dwordx4 v[108:111], v[132:133], off offset:2240
	v_mad_u64_u32 v[120:121], s[6:7], s8, v38, v[112:113]
	v_add_u32_e32 v121, s9, v121
	global_load_dwordx4 v[112:115], v[120:121], off
	global_load_dwordx4 v[116:119], v[132:133], off offset:2768
	v_mad_u64_u32 v[128:129], s[6:7], s8, v38, v[120:121]
	v_add_u32_e32 v129, s9, v129
	global_load_dwordx4 v[120:123], v[128:129], off
	;; [unrolled: 4-line block ×3, first 2 shown]
	s_nop 0
	global_load_dwordx4 v[132:135], v[132:133], off offset:3824
	v_mad_u64_u32 v[38:39], s[6:7], s8, v38, v[136:137]
	v_accvgpr_read_b32 v141, a1
	v_add_u32_e32 v39, s9, v39
	v_lshl_add_u32 v140, v138, 4, v141
	global_load_dwordx4 v[136:139], v[38:39], off
	s_waitcnt vmcnt(32)
	v_mul_f64 v[36:37], v[6:7], v[2:3]
	v_mul_f64 v[2:3], v[4:5], v[2:3]
	v_fmac_f64_e32 v[36:37], v[4:5], v[0:1]
	v_fma_f64 v[38:39], v[6:7], v[0:1], -v[2:3]
	v_add_u32_e32 v4, v141, v142
	ds_write_b128 v140, v[36:39]
	s_waitcnt vmcnt(24)
	v_mul_f64 v[0:1], v[42:43], v[10:11]
	v_mul_f64 v[2:3], v[40:41], v[10:11]
	v_fmac_f64_e32 v[0:1], v[40:41], v[8:9]
	v_fma_f64 v[2:3], v[42:43], v[8:9], -v[2:3]
	ds_write_b128 v4, v[0:3] offset:528
	s_waitcnt vmcnt(23)
	v_mul_f64 v[0:1], v[46:47], v[14:15]
	v_mul_f64 v[2:3], v[44:45], v[14:15]
	v_fmac_f64_e32 v[0:1], v[44:45], v[12:13]
	v_fma_f64 v[2:3], v[46:47], v[12:13], -v[2:3]
	ds_write_b128 v4, v[0:3] offset:1056
	;; [unrolled: 6-line block ×16, first 2 shown]
.LBB0_3:
	s_or_b64 exec, exec, s[2:3]
	s_waitcnt lgkmcnt(0)
	s_barrier
	s_waitcnt lgkmcnt(0)
                                        ; implicit-def: $vgpr20_vgpr21
                                        ; implicit-def: $vgpr24_vgpr25
                                        ; implicit-def: $vgpr28_vgpr29
                                        ; implicit-def: $vgpr32_vgpr33
                                        ; implicit-def: $vgpr36_vgpr37
                                        ; implicit-def: $vgpr40_vgpr41
                                        ; implicit-def: $vgpr44_vgpr45
                                        ; implicit-def: $vgpr48_vgpr49
                                        ; implicit-def: $vgpr52_vgpr53
                                        ; implicit-def: $vgpr56_vgpr57
                                        ; implicit-def: $vgpr60_vgpr61
                                        ; implicit-def: $vgpr64_vgpr65
                                        ; implicit-def: $vgpr68_vgpr69
                                        ; implicit-def: $vgpr72_vgpr73
                                        ; implicit-def: $vgpr76_vgpr77
                                        ; implicit-def: $vgpr80_vgpr81
                                        ; implicit-def: $vgpr84_vgpr85
	s_and_saveexec_b64 s[2:3], s[4:5]
	s_cbranch_execz .LBB0_5
; %bb.4:
	v_accvgpr_read_b32 v0, a0
	v_accvgpr_read_b32 v1, a58
	v_lshl_add_u32 v0, v1, 4, v0
	ds_read_b128 v[20:23], v0
	ds_read_b128 v[24:27], v0 offset:528
	ds_read_b128 v[28:31], v0 offset:1056
	;; [unrolled: 1-line block ×16, first 2 shown]
.LBB0_5:
	s_or_b64 exec, exec, s[2:3]
	s_mov_b32 s24, 0x5d8e7cdc
	s_waitcnt lgkmcnt(0)
	v_add_f64 v[90:91], v[26:27], -v[86:87]
	s_mov_b32 s25, 0xbfd71e95
	s_mov_b32 s30, 0x2a9d6da3
	v_add_f64 v[88:89], v[24:25], -v[84:85]
	s_mov_b32 s2, 0x370991
	v_mul_f64 v[0:1], v[90:91], s[24:25]
	s_mov_b32 s31, 0xbfe58eea
	v_add_f64 v[102:103], v[30:31], -v[82:83]
	v_add_f64 v[128:129], v[24:25], v[84:85]
	s_mov_b32 s3, 0x3fedd6d0
	v_mul_f64 v[2:3], v[88:89], s[24:25]
	v_accvgpr_write_b32 a27, v1
	s_mov_b32 s10, 0x75d4884
	v_mul_f64 v[4:5], v[102:103], s[30:31]
	v_add_f64 v[130:131], v[26:27], v[86:87]
	v_accvgpr_write_b32 a26, v0
	v_fma_f64 v[0:1], s[2:3], v[128:129], v[0:1]
	v_accvgpr_write_b32 a29, v3
	s_mov_b32 s11, 0x3fe7a5f6
	v_add_f64 v[140:141], v[28:29], v[80:81]
	v_add_f64 v[100:101], v[28:29], -v[80:81]
	v_accvgpr_write_b32 a31, v5
	v_add_f64 v[0:1], v[20:21], v[0:1]
	v_accvgpr_write_b32 a28, v2
	v_fma_f64 v[2:3], v[130:131], s[2:3], -v[2:3]
	s_mov_b32 s40, 0x7c9e640b
	v_add_f64 v[142:143], v[30:31], v[82:83]
	v_mul_f64 v[6:7], v[100:101], s[30:31]
	v_accvgpr_write_b32 a30, v4
	v_fma_f64 v[4:5], s[10:11], v[140:141], v[4:5]
	v_add_f64 v[2:3], v[22:23], v[2:3]
	s_mov_b32 s41, 0xbfeca52d
	v_add_f64 v[0:1], v[4:5], v[0:1]
	v_fma_f64 v[4:5], v[142:143], s[10:11], -v[6:7]
	v_add_f64 v[106:107], v[34:35], -v[78:79]
	s_mov_b32 s6, 0x2b2883cd
	v_add_f64 v[2:3], v[4:5], v[2:3]
	v_mul_f64 v[4:5], v[106:107], s[40:41]
	s_mov_b32 s7, 0x3fdc86fa
	v_accvgpr_write_b32 a33, v7
	v_add_f64 v[148:149], v[32:33], v[76:77]
	v_add_f64 v[104:105], v[32:33], -v[76:77]
	v_accvgpr_write_b32 a35, v5
	s_mov_b32 s36, 0xeb564b22
	v_accvgpr_write_b32 a32, v6
	v_add_f64 v[150:151], v[34:35], v[78:79]
	v_mul_f64 v[6:7], v[104:105], s[40:41]
	v_accvgpr_write_b32 a34, v4
	v_fma_f64 v[4:5], s[6:7], v[148:149], v[4:5]
	s_mov_b32 s37, 0xbfefdd0d
	v_add_f64 v[0:1], v[4:5], v[0:1]
	v_fma_f64 v[4:5], v[150:151], s[6:7], -v[6:7]
	v_add_f64 v[110:111], v[38:39], -v[74:75]
	s_mov_b32 s16, 0x3259b75e
	v_add_f64 v[2:3], v[4:5], v[2:3]
	v_mul_f64 v[4:5], v[110:111], s[36:37]
	s_mov_b32 s17, 0x3fb79ee6
	v_accvgpr_write_b32 a37, v7
	v_add_f64 v[154:155], v[36:37], v[72:73]
	v_add_f64 v[108:109], v[36:37], -v[72:73]
	v_accvgpr_write_b32 a39, v5
	s_mov_b32 s26, 0x923c349f
	v_accvgpr_write_b32 a36, v6
	v_add_f64 v[156:157], v[38:39], v[74:75]
	v_mul_f64 v[6:7], v[108:109], s[36:37]
	v_accvgpr_write_b32 a38, v4
	v_fma_f64 v[4:5], s[16:17], v[154:155], v[4:5]
	;; [unrolled: 18-line block ×5, first 2 shown]
	s_mov_b32 s39, 0xbfc7851a
	v_add_f64 v[0:1], v[4:5], v[0:1]
	v_fma_f64 v[4:5], v[178:179], s[20:21], -v[6:7]
	v_add_f64 v[196:197], v[54:55], -v[58:59]
	s_mov_b32 s22, 0x7faef3
	v_add_f64 v[2:3], v[4:5], v[2:3]
	v_mul_f64 v[4:5], v[196:197], s[38:39]
	s_mov_b32 s23, 0xbfef7484
	v_add_f64 v[190:191], v[52:53], v[56:57]
	v_accvgpr_write_b32 a55, v5
	v_accvgpr_write_b32 a54, v4
	v_fma_f64 v[4:5], s[22:23], v[190:191], v[4:5]
	v_add_f64 v[192:193], v[52:53], -v[56:57]
	v_add_f64 v[4:5], v[4:5], v[0:1]
	v_mul_f64 v[0:1], v[192:193], s[38:39]
	v_add_f64 v[204:205], v[54:55], v[58:59]
	v_accvgpr_write_b32 a57, v1
	v_accvgpr_write_b32 a53, v7
	;; [unrolled: 1-line block ×3, first 2 shown]
	v_fma_f64 v[0:1], v[204:205], s[22:23], -v[0:1]
	v_accvgpr_write_b32 a52, v6
	v_add_f64 v[6:7], v[0:1], v[2:3]
	v_mul_f64 v[0:1], v[90:91], s[30:31]
	v_accvgpr_write_b32 a61, v1
	v_mul_f64 v[2:3], v[102:103], s[36:37]
	v_accvgpr_write_b32 a60, v0
	v_fma_f64 v[0:1], s[10:11], v[128:129], v[0:1]
	v_accvgpr_write_b32 a63, v3
	v_add_f64 v[0:1], v[20:21], v[0:1]
	v_accvgpr_write_b32 a62, v2
	v_fma_f64 v[2:3], s[16:17], v[140:141], v[2:3]
	v_accvgpr_write_b32 a9, v7
	v_add_f64 v[0:1], v[2:3], v[0:1]
	v_mul_f64 v[2:3], v[88:89], s[30:31]
	v_accvgpr_write_b32 a8, v6
	v_accvgpr_write_b32 a7, v5
	;; [unrolled: 1-line block ×4, first 2 shown]
	v_mul_f64 v[4:5], v[100:101], s[36:37]
	v_accvgpr_write_b32 a68, v2
	v_fma_f64 v[2:3], v[130:131], s[10:11], -v[2:3]
	v_accvgpr_write_b32 a71, v5
	v_add_f64 v[2:3], v[22:23], v[2:3]
	v_accvgpr_write_b32 a70, v4
	v_fma_f64 v[4:5], v[142:143], s[16:17], -v[4:5]
	v_add_f64 v[2:3], v[4:5], v[2:3]
	v_mul_f64 v[4:5], v[106:107], s[28:29]
	v_accvgpr_write_b32 a65, v5
	v_accvgpr_write_b32 a64, v4
	v_fma_f64 v[4:5], s[18:19], v[148:149], v[4:5]
	v_add_f64 v[0:1], v[4:5], v[0:1]
	v_mul_f64 v[4:5], v[104:105], s[28:29]
	v_accvgpr_write_b32 a75, v5
	v_accvgpr_write_b32 a74, v4
	v_fma_f64 v[4:5], v[150:151], s[18:19], -v[4:5]
	v_add_f64 v[2:3], v[4:5], v[2:3]
	v_mul_f64 v[4:5], v[110:111], s[38:39]
	v_accvgpr_write_b32 a67, v5
	v_accvgpr_write_b32 a66, v4
	v_fma_f64 v[4:5], s[22:23], v[154:155], v[4:5]
	v_add_f64 v[0:1], v[4:5], v[0:1]
	v_mul_f64 v[4:5], v[108:109], s[38:39]
	v_accvgpr_write_b32 a79, v5
	v_accvgpr_write_b32 a78, v4
	v_fma_f64 v[4:5], v[156:157], s[22:23], -v[4:5]
	s_mov_b32 s51, 0x3fe0d888
	s_mov_b32 s50, s34
	v_add_f64 v[2:3], v[4:5], v[2:3]
	v_mul_f64 v[4:5], v[182:183], s[50:51]
	v_accvgpr_write_b32 a73, v5
	v_accvgpr_write_b32 a72, v4
	v_fma_f64 v[4:5], s[20:21], v[162:163], v[4:5]
	v_add_f64 v[0:1], v[4:5], v[0:1]
	v_mul_f64 v[4:5], v[172:173], s[50:51]
	v_accvgpr_write_b32 a83, v5
	v_accvgpr_write_b32 a82, v4
	v_fma_f64 v[4:5], v[164:165], s[20:21], -v[4:5]
	s_mov_b32 s49, 0x3feec746
	s_mov_b32 s48, s26
	;; [unrolled: 12-line block ×4, first 2 shown]
	v_add_f64 v[2:3], v[4:5], v[2:3]
	v_mul_f64 v[4:5], v[196:197], s[44:45]
	v_accvgpr_write_b32 a85, v5
	v_accvgpr_write_b32 a84, v4
	v_fma_f64 v[4:5], s[2:3], v[190:191], v[4:5]
	v_add_f64 v[4:5], v[4:5], v[0:1]
	v_mul_f64 v[0:1], v[192:193], s[44:45]
	v_accvgpr_write_b32 a91, v1
	v_accvgpr_write_b32 a90, v0
	v_fma_f64 v[0:1], v[204:205], s[2:3], -v[0:1]
	v_add_f64 v[6:7], v[0:1], v[2:3]
	v_mul_f64 v[0:1], v[90:91], s[40:41]
	v_accvgpr_write_b32 a93, v1
	v_mul_f64 v[2:3], v[102:103], s[28:29]
	v_accvgpr_write_b32 a92, v0
	v_fma_f64 v[0:1], s[6:7], v[128:129], v[0:1]
	v_accvgpr_write_b32 a95, v3
	v_add_f64 v[0:1], v[20:21], v[0:1]
	v_accvgpr_write_b32 a94, v2
	v_fma_f64 v[2:3], s[18:19], v[140:141], v[2:3]
	v_accvgpr_write_b32 a13, v7
	v_add_f64 v[0:1], v[2:3], v[0:1]
	v_mul_f64 v[2:3], v[88:89], s[40:41]
	v_accvgpr_write_b32 a12, v6
	v_accvgpr_write_b32 a11, v5
	;; [unrolled: 1-line block ×4, first 2 shown]
	v_mul_f64 v[4:5], v[100:101], s[28:29]
	v_accvgpr_write_b32 a106, v2
	v_fma_f64 v[2:3], v[130:131], s[6:7], -v[2:3]
	v_accvgpr_write_b32 a109, v5
	v_add_f64 v[2:3], v[22:23], v[2:3]
	v_accvgpr_write_b32 a108, v4
	v_fma_f64 v[4:5], v[142:143], s[18:19], -v[4:5]
	s_mov_b32 s47, 0x3fc7851a
	s_mov_b32 s46, s38
	v_add_f64 v[2:3], v[4:5], v[2:3]
	v_mul_f64 v[4:5], v[106:107], s[46:47]
	v_accvgpr_write_b32 a97, v5
	v_accvgpr_write_b32 a96, v4
	v_fma_f64 v[4:5], s[22:23], v[148:149], v[4:5]
	v_add_f64 v[0:1], v[4:5], v[0:1]
	v_mul_f64 v[4:5], v[104:105], s[46:47]
	v_accvgpr_write_b32 a113, v5
	v_accvgpr_write_b32 a112, v4
	v_fma_f64 v[4:5], v[150:151], s[22:23], -v[4:5]
	v_add_f64 v[2:3], v[4:5], v[2:3]
	v_mul_f64 v[4:5], v[110:111], s[48:49]
	v_accvgpr_write_b32 a99, v5
	v_accvgpr_write_b32 a98, v4
	v_fma_f64 v[4:5], s[8:9], v[154:155], v[4:5]
	v_add_f64 v[0:1], v[4:5], v[0:1]
	v_mul_f64 v[4:5], v[108:109], s[48:49]
	v_accvgpr_write_b32 a115, v5
	v_accvgpr_write_b32 a114, v4
	v_fma_f64 v[4:5], v[156:157], s[8:9], -v[4:5]
	s_mov_b32 s47, 0x3fe58eea
	s_mov_b32 s46, s30
	v_add_f64 v[2:3], v[4:5], v[2:3]
	v_mul_f64 v[4:5], v[182:183], s[46:47]
	v_accvgpr_write_b32 a101, v5
	v_accvgpr_write_b32 a100, v4
	v_fma_f64 v[4:5], s[10:11], v[162:163], v[4:5]
	v_add_f64 v[0:1], v[4:5], v[0:1]
	v_mul_f64 v[4:5], v[172:173], s[46:47]
	v_accvgpr_write_b32 a117, v5
	v_accvgpr_write_b32 a116, v4
	v_fma_f64 v[4:5], v[164:165], s[10:11], -v[4:5]
	v_add_f64 v[2:3], v[4:5], v[2:3]
	v_mul_f64 v[4:5], v[214:215], s[24:25]
	v_accvgpr_write_b32 a103, v5
	v_accvgpr_write_b32 a102, v4
	v_fma_f64 v[4:5], s[2:3], v[168:169], v[4:5]
	v_add_f64 v[0:1], v[4:5], v[0:1]
	v_mul_f64 v[4:5], v[210:211], s[24:25]
	v_accvgpr_write_b32 a119, v5
	v_accvgpr_write_b32 a118, v4
	v_fma_f64 v[4:5], v[170:171], s[2:3], -v[4:5]
	;; [unrolled: 10-line block ×4, first 2 shown]
	v_add_f64 v[6:7], v[0:1], v[2:3]
	v_mul_f64 v[0:1], v[90:91], s[36:37]
	v_accvgpr_write_b32 a125, v1
	v_mul_f64 v[2:3], v[102:103], s[38:39]
	v_accvgpr_write_b32 a124, v0
	v_fma_f64 v[0:1], s[16:17], v[128:129], v[0:1]
	v_accvgpr_write_b32 a127, v3
	v_add_f64 v[0:1], v[20:21], v[0:1]
	v_accvgpr_write_b32 a126, v2
	v_fma_f64 v[2:3], s[22:23], v[140:141], v[2:3]
	v_accvgpr_write_b32 a17, v7
	v_add_f64 v[0:1], v[2:3], v[0:1]
	v_mul_f64 v[2:3], v[88:89], s[36:37]
	v_accvgpr_write_b32 a16, v6
	v_accvgpr_write_b32 a15, v5
	v_accvgpr_write_b32 a14, v4
	v_accvgpr_write_b32 a133, v3
	v_mul_f64 v[4:5], v[100:101], s[38:39]
	v_accvgpr_write_b32 a132, v2
	v_fma_f64 v[2:3], v[130:131], s[16:17], -v[2:3]
	v_accvgpr_write_b32 a137, v5
	v_add_f64 v[2:3], v[22:23], v[2:3]
	v_accvgpr_write_b32 a136, v4
	v_fma_f64 v[4:5], v[142:143], s[22:23], -v[4:5]
	v_add_f64 v[2:3], v[4:5], v[2:3]
	v_mul_f64 v[4:5], v[106:107], s[48:49]
	v_accvgpr_write_b32 a129, v5
	v_accvgpr_write_b32 a128, v4
	v_fma_f64 v[4:5], s[8:9], v[148:149], v[4:5]
	v_add_f64 v[0:1], v[4:5], v[0:1]
	v_mul_f64 v[4:5], v[104:105], s[48:49]
	v_accvgpr_write_b32 a141, v5
	v_accvgpr_write_b32 a140, v4
	v_fma_f64 v[4:5], v[150:151], s[8:9], -v[4:5]
	v_add_f64 v[2:3], v[4:5], v[2:3]
	v_mul_f64 v[4:5], v[110:111], s[44:45]
	v_accvgpr_write_b32 a131, v5
	v_accvgpr_write_b32 a130, v4
	v_fma_f64 v[4:5], s[2:3], v[154:155], v[4:5]
	v_add_f64 v[0:1], v[4:5], v[0:1]
	v_mul_f64 v[4:5], v[108:109], s[44:45]
	v_accvgpr_write_b32 a145, v5
	v_accvgpr_write_b32 a144, v4
	v_fma_f64 v[4:5], v[156:157], s[2:3], -v[4:5]
	v_add_f64 v[2:3], v[4:5], v[2:3]
	v_mul_f64 v[4:5], v[182:183], s[40:41]
	v_accvgpr_write_b32 a135, v5
	v_accvgpr_write_b32 a134, v4
	v_fma_f64 v[4:5], s[6:7], v[162:163], v[4:5]
	v_mul_f64 v[144:145], v[172:173], s[40:41]
	v_add_f64 v[0:1], v[4:5], v[0:1]
	v_fma_f64 v[4:5], v[164:165], s[6:7], -v[144:145]
	v_add_f64 v[2:3], v[4:5], v[2:3]
	v_mul_f64 v[4:5], v[214:215], s[34:35]
	v_accvgpr_write_b32 a139, v5
	v_accvgpr_write_b32 a138, v4
	v_fma_f64 v[4:5], s[20:21], v[168:169], v[4:5]
	v_mul_f64 v[146:147], v[210:211], s[34:35]
	v_add_f64 v[0:1], v[4:5], v[0:1]
	v_fma_f64 v[4:5], v[170:171], s[20:21], -v[146:147]
	s_mov_b32 s53, 0x3fe9895b
	s_mov_b32 s52, s28
	v_add_f64 v[2:3], v[4:5], v[2:3]
	v_mul_f64 v[4:5], v[226:227], s[52:53]
	v_accvgpr_write_b32 a143, v5
	v_accvgpr_write_b32 a142, v4
	v_fma_f64 v[4:5], s[18:19], v[176:177], v[4:5]
	v_mul_f64 v[152:153], v[222:223], s[52:53]
	v_add_f64 v[0:1], v[4:5], v[0:1]
	v_fma_f64 v[4:5], v[178:179], s[18:19], -v[152:153]
	v_mul_f64 v[138:139], v[196:197], s[46:47]
	v_add_f64 v[2:3], v[4:5], v[2:3]
	v_fma_f64 v[4:5], s[10:11], v[190:191], v[138:139]
	v_mul_f64 v[158:159], v[192:193], s[46:47]
	v_add_f64 v[4:5], v[4:5], v[0:1]
	v_fma_f64 v[0:1], v[204:205], s[10:11], -v[158:159]
	v_mul_f64 v[112:113], v[90:91], s[26:27]
	v_add_f64 v[6:7], v[0:1], v[2:3]
	v_fma_f64 v[0:1], s[8:9], v[128:129], v[112:113]
	v_mul_f64 v[114:115], v[102:103], s[50:51]
	v_add_f64 v[0:1], v[20:21], v[0:1]
	v_fma_f64 v[2:3], s[20:21], v[140:141], v[114:115]
	v_mul_f64 v[174:175], v[88:89], s[26:27]
	v_accvgpr_write_b32 a21, v7
	v_add_f64 v[0:1], v[2:3], v[0:1]
	v_fma_f64 v[2:3], v[130:131], s[8:9], -v[174:175]
	v_mul_f64 v[184:185], v[100:101], s[50:51]
	v_accvgpr_write_b32 a20, v6
	v_accvgpr_write_b32 a19, v5
	v_accvgpr_write_b32 a18, v4
	v_add_f64 v[2:3], v[22:23], v[2:3]
	v_fma_f64 v[4:5], v[142:143], s[20:21], -v[184:185]
	v_mul_f64 v[160:161], v[106:107], s[46:47]
	v_add_f64 v[2:3], v[4:5], v[2:3]
	v_fma_f64 v[4:5], s[10:11], v[148:149], v[160:161]
	v_mul_f64 v[188:189], v[104:105], s[46:47]
	v_add_f64 v[0:1], v[4:5], v[0:1]
	v_fma_f64 v[4:5], v[150:151], s[10:11], -v[188:189]
	v_mul_f64 v[166:167], v[110:111], s[40:41]
	v_add_f64 v[2:3], v[4:5], v[2:3]
	v_fma_f64 v[4:5], s[6:7], v[154:155], v[166:167]
	v_mul_f64 v[200:201], v[108:109], s[40:41]
	;; [unrolled: 6-line block ×3, first 2 shown]
	s_mov_b32 s41, 0x3fefdd0d
	s_mov_b32 s40, s36
	v_add_f64 v[0:1], v[4:5], v[0:1]
	v_fma_f64 v[4:5], v[164:165], s[22:23], -v[206:207]
	v_mul_f64 v[186:187], v[214:215], s[40:41]
	v_add_f64 v[2:3], v[4:5], v[2:3]
	v_fma_f64 v[4:5], s[16:17], v[168:169], v[186:187]
	v_mul_f64 v[208:209], v[210:211], s[40:41]
	v_add_f64 v[0:1], v[4:5], v[0:1]
	v_fma_f64 v[4:5], v[170:171], s[16:17], -v[208:209]
	v_mul_f64 v[198:199], v[226:227], s[24:25]
	v_add_f64 v[2:3], v[4:5], v[2:3]
	v_fma_f64 v[4:5], s[2:3], v[176:177], v[198:199]
	v_mul_f64 v[212:213], v[222:223], s[24:25]
	;; [unrolled: 6-line block ×4, first 2 shown]
	v_add_f64 v[0:1], v[20:21], v[0:1]
	v_fma_f64 v[2:3], s[8:9], v[140:141], v[220:221]
	v_mul_f64 v[228:229], v[88:89], s[28:29]
	v_accvgpr_write_b32 a25, v7
	v_add_f64 v[0:1], v[2:3], v[0:1]
	v_fma_f64 v[2:3], v[130:131], s[18:19], -v[228:229]
	v_mul_f64 v[232:233], v[100:101], s[48:49]
	v_accvgpr_write_b32 a24, v6
	v_accvgpr_write_b32 a23, v5
	;; [unrolled: 1-line block ×3, first 2 shown]
	v_add_f64 v[2:3], v[22:23], v[2:3]
	v_fma_f64 v[4:5], v[142:143], s[8:9], -v[232:233]
	v_mul_f64 v[194:195], v[106:107], s[24:25]
	v_add_f64 v[2:3], v[4:5], v[2:3]
	v_fma_f64 v[4:5], s[2:3], v[148:149], v[194:195]
	v_mul_f64 v[236:237], v[104:105], s[24:25]
	v_add_f64 v[0:1], v[4:5], v[0:1]
	v_fma_f64 v[4:5], v[150:151], s[2:3], -v[236:237]
	v_mul_f64 v[224:225], v[110:111], s[34:35]
	v_add_f64 v[2:3], v[4:5], v[2:3]
	v_fma_f64 v[4:5], s[20:21], v[154:155], v[224:225]
	v_mul_f64 v[240:241], v[108:109], s[34:35]
	;; [unrolled: 6-line block ×6, first 2 shown]
	v_add_f64 v[92:93], v[4:5], v[0:1]
	v_fma_f64 v[0:1], v[204:205], s[6:7], -v[250:251]
	v_add_f64 v[94:95], v[0:1], v[2:3]
	v_mul_f64 v[0:1], v[90:91], s[34:35]
	v_fma_f64 v[2:3], s[20:21], v[128:129], v[0:1]
	v_add_f64 v[4:5], v[20:21], v[2:3]
	v_mul_f64 v[2:3], v[102:103], s[42:43]
	v_fma_f64 v[6:7], s[6:7], v[140:141], v[2:3]
	v_mul_f64 v[8:9], v[88:89], s[34:35]
	v_add_f64 v[6:7], v[6:7], v[4:5]
	v_fma_f64 v[4:5], v[130:131], s[20:21], -v[8:9]
	v_mul_f64 v[116:117], v[100:101], s[42:43]
	v_add_f64 v[4:5], v[22:23], v[4:5]
	v_fma_f64 v[10:11], v[142:143], s[6:7], -v[116:117]
	v_add_f64 v[10:11], v[10:11], v[4:5]
	v_mul_f64 v[4:5], v[106:107], s[36:37]
	v_fma_f64 v[12:13], s[16:17], v[148:149], v[4:5]
	v_add_f64 v[14:15], v[12:13], v[6:7]
	v_mul_f64 v[12:13], v[104:105], s[36:37]
	v_fma_f64 v[6:7], v[150:151], s[16:17], -v[12:13]
	v_add_f64 v[10:11], v[6:7], v[10:11]
	v_mul_f64 v[6:7], v[110:111], s[52:53]
	v_fma_f64 v[16:17], s[18:19], v[154:155], v[6:7]
	v_add_f64 v[14:15], v[16:17], v[14:15]
	v_mul_f64 v[16:17], v[108:109], s[52:53]
	v_fma_f64 v[18:19], v[156:157], s[18:19], -v[16:17]
	v_add_f64 v[18:19], v[18:19], v[10:11]
	v_mul_f64 v[10:11], v[182:183], s[24:25]
	v_fma_f64 v[96:97], s[2:3], v[162:163], v[10:11]
	v_mul_f64 v[252:253], v[172:173], s[24:25]
	v_add_f64 v[14:15], v[96:97], v[14:15]
	v_fma_f64 v[96:97], v[164:165], s[2:3], -v[252:253]
	v_mul_f64 v[118:119], v[214:215], s[38:39]
	v_add_f64 v[18:19], v[96:97], v[18:19]
	v_fma_f64 v[96:97], s[22:23], v[168:169], v[118:119]
	v_mul_f64 v[254:255], v[210:211], s[38:39]
	v_add_f64 v[96:97], v[96:97], v[14:15]
	v_fma_f64 v[14:15], v[170:171], s[22:23], -v[254:255]
	v_add_f64 v[18:19], v[14:15], v[18:19]
	v_mul_f64 v[14:15], v[226:227], s[46:47]
	v_fma_f64 v[98:99], s[10:11], v[176:177], v[14:15]
	v_mul_f64 v[120:121], v[222:223], s[46:47]
	v_add_f64 v[96:97], v[98:99], v[96:97]
	v_fma_f64 v[98:99], v[178:179], s[10:11], -v[120:121]
	v_add_f64 v[98:99], v[98:99], v[18:19]
	v_mul_f64 v[18:19], v[196:197], s[26:27]
	v_fma_f64 v[122:123], s[8:9], v[190:191], v[18:19]
	v_add_f64 v[96:97], v[122:123], v[96:97]
	v_mul_f64 v[122:123], v[192:193], s[26:27]
	v_fma_f64 v[124:125], v[204:205], s[8:9], -v[122:123]
	v_add_f64 v[98:99], v[124:125], v[98:99]
	v_mul_f64 v[124:125], v[90:91], s[38:39]
	v_fma_f64 v[90:91], s[22:23], v[128:129], v[124:125]
	v_mul_f64 v[102:103], v[102:103], s[44:45]
	v_add_f64 v[90:91], v[20:21], v[90:91]
	v_fma_f64 v[126:127], s[2:3], v[140:141], v[102:103]
	v_add_f64 v[90:91], v[126:127], v[90:91]
	v_mul_f64 v[126:127], v[88:89], s[38:39]
	v_fma_f64 v[88:89], v[130:131], s[22:23], -v[126:127]
	v_mul_f64 v[132:133], v[100:101], s[44:45]
	v_add_f64 v[88:89], v[22:23], v[88:89]
	v_fma_f64 v[100:101], v[142:143], s[2:3], -v[132:133]
	v_mul_f64 v[134:135], v[104:105], s[34:35]
	v_add_f64 v[88:89], v[100:101], v[88:89]
	v_mul_f64 v[100:101], v[106:107], s[34:35]
	v_fma_f64 v[104:105], v[150:151], s[20:21], -v[134:135]
	v_fma_f64 v[106:107], s[20:21], v[148:149], v[100:101]
	v_add_f64 v[88:89], v[104:105], v[88:89]
	v_mul_f64 v[104:105], v[110:111], s[46:47]
	v_add_f64 v[90:91], v[106:107], v[90:91]
	v_fma_f64 v[106:107], s[10:11], v[154:155], v[104:105]
	v_mul_f64 v[136:137], v[108:109], s[46:47]
	v_add_f64 v[90:91], v[106:107], v[90:91]
	v_fma_f64 v[106:107], v[156:157], s[10:11], -v[136:137]
	v_add_f64 v[88:89], v[106:107], v[88:89]
	v_mul_f64 v[106:107], v[182:183], s[28:29]
	v_fma_f64 v[108:109], s[18:19], v[162:163], v[106:107]
	v_mul_f64 v[182:183], v[172:173], s[28:29]
	v_add_f64 v[90:91], v[108:109], v[90:91]
	v_fma_f64 v[108:109], v[164:165], s[18:19], -v[182:183]
	v_add_f64 v[88:89], v[108:109], v[88:89]
	v_mul_f64 v[108:109], v[214:215], s[42:43]
	;; [unrolled: 6-line block ×3, first 2 shown]
	v_fma_f64 v[172:173], s[8:9], v[176:177], v[110:111]
	v_mul_f64 v[214:215], v[222:223], s[26:27]
	v_add_f64 v[90:91], v[172:173], v[90:91]
	v_fma_f64 v[172:173], v[178:179], s[8:9], -v[214:215]
	s_load_dwordx2 s[24:25], s[0:1], 0x20
	s_nop 0
	s_load_dwordx2 s[0:1], s[0:1], 0x8
	v_add_f64 v[222:223], v[172:173], v[88:89]
	v_mul_f64 v[172:173], v[196:197], s[40:41]
	v_mul_f64 v[192:193], v[192:193], s[40:41]
	v_fma_f64 v[88:89], s[16:17], v[190:191], v[172:173]
	v_accvgpr_read_b32 v196, a4
	v_add_f64 v[88:89], v[88:89], v[90:91]
	v_fma_f64 v[90:91], v[204:205], s[16:17], -v[192:193]
	v_mul_lo_u16_e32 v196, 17, v196
	v_add_f64 v[90:91], v[90:91], v[222:223]
	v_accvgpr_write_b32 a3, v196
	s_waitcnt lgkmcnt(0)
	s_barrier
	s_and_saveexec_b64 s[26:27], s[4:5]
	s_cbranch_execz .LBB0_7
; %bb.6:
	v_mul_f64 v[196:197], v[204:205], s[16:17]
	v_add_f64 v[192:193], v[192:193], v[196:197]
	v_mul_f64 v[196:197], v[178:179], s[8:9]
	v_add_f64 v[196:197], v[214:215], v[196:197]
	;; [unrolled: 2-line block ×8, first 2 shown]
	v_add_f64 v[126:127], v[22:23], v[126:127]
	v_add_f64 v[126:127], v[132:133], v[126:127]
	;; [unrolled: 1-line block ×3, first 2 shown]
	v_mul_f64 v[134:135], v[176:177], s[8:9]
	v_add_f64 v[110:111], v[134:135], -v[110:111]
	v_mul_f64 v[134:135], v[168:169], s[6:7]
	v_add_f64 v[108:109], v[134:135], -v[108:109]
	;; [unrolled: 2-line block ×7, first 2 shown]
	v_add_f64 v[124:125], v[20:21], v[124:125]
	v_add_f64 v[102:103], v[102:103], v[124:125]
	;; [unrolled: 1-line block ×5, first 2 shown]
	v_mul_f64 v[106:107], v[178:179], s[10:11]
	v_add_f64 v[106:107], v[120:121], v[106:107]
	v_mul_f64 v[120:121], v[156:157], s[18:19]
	v_add_f64 v[16:17], v[16:17], v[120:121]
	;; [unrolled: 2-line block ×5, first 2 shown]
	v_add_f64 v[8:9], v[22:23], v[8:9]
	v_add_f64 v[8:9], v[116:117], v[8:9]
	;; [unrolled: 1-line block ×3, first 2 shown]
	v_mul_f64 v[12:13], v[190:191], s[8:9]
	v_add_f64 v[12:13], v[12:13], -v[18:19]
	v_mul_f64 v[18:19], v[162:163], s[2:3]
	v_add_f64 v[10:11], v[18:19], -v[10:11]
	;; [unrolled: 2-line block ×6, first 2 shown]
	v_add_f64 v[0:1], v[20:21], v[0:1]
	v_add_f64 v[100:101], v[108:109], v[100:101]
	;; [unrolled: 1-line block ×4, first 2 shown]
	v_mul_f64 v[110:111], v[164:165], s[2:3]
	v_add_f64 v[8:9], v[16:17], v[8:9]
	v_mul_f64 v[16:17], v[176:177], s[10:11]
	v_add_f64 v[0:1], v[4:5], v[0:1]
	;; [unrolled: 2-line block ×3, first 2 shown]
	v_add_f64 v[14:15], v[16:17], -v[14:15]
	v_mul_f64 v[16:17], v[168:169], s[22:23]
	v_add_f64 v[0:1], v[6:7], v[0:1]
	v_add_f64 v[108:109], v[254:255], v[108:109]
	;; [unrolled: 1-line block ×3, first 2 shown]
	v_add_f64 v[16:17], v[16:17], -v[118:119]
	v_add_f64 v[0:1], v[10:11], v[0:1]
	v_mul_f64 v[104:105], v[204:205], s[8:9]
	v_add_f64 v[8:9], v[108:109], v[8:9]
	v_add_f64 v[0:1], v[16:17], v[0:1]
	;; [unrolled: 1-line block ×5, first 2 shown]
	v_mul_f64 v[14:15], v[130:131], s[18:19]
	v_add_f64 v[106:107], v[104:105], v[8:9]
	v_add_f64 v[104:105], v[12:13], v[0:1]
	v_mul_f64 v[12:13], v[142:143], s[8:9]
	v_add_f64 v[14:15], v[228:229], v[14:15]
	v_mul_f64 v[18:19], v[128:129], s[18:19]
	v_mul_f64 v[10:11], v[150:151], s[2:3]
	v_add_f64 v[12:13], v[232:233], v[12:13]
	v_add_f64 v[14:15], v[22:23], v[14:15]
	v_mul_f64 v[16:17], v[140:141], s[8:9]
	v_add_f64 v[18:19], v[18:19], -v[218:219]
	v_mul_f64 v[8:9], v[156:157], s[20:21]
	v_add_f64 v[10:11], v[236:237], v[10:11]
	v_add_f64 v[12:13], v[12:13], v[14:15]
	v_mul_f64 v[14:15], v[148:149], s[2:3]
	v_add_f64 v[16:17], v[16:17], -v[220:221]
	v_add_f64 v[18:19], v[20:21], v[18:19]
	v_mul_f64 v[6:7], v[164:165], s[16:17]
	v_add_f64 v[8:9], v[240:241], v[8:9]
	v_add_f64 v[10:11], v[10:11], v[12:13]
	v_mul_f64 v[12:13], v[154:155], s[20:21]
	v_add_f64 v[14:15], v[14:15], -v[194:195]
	v_add_f64 v[16:17], v[16:17], v[18:19]
	v_mul_f64 v[4:5], v[170:171], s[10:11]
	v_add_f64 v[6:7], v[244:245], v[6:7]
	v_add_f64 v[8:9], v[8:9], v[10:11]
	v_mul_f64 v[10:11], v[162:163], s[16:17]
	v_add_f64 v[12:13], v[12:13], -v[224:225]
	v_add_f64 v[14:15], v[14:15], v[16:17]
	v_mul_f64 v[2:3], v[178:179], s[22:23]
	v_add_f64 v[4:5], v[246:247], v[4:5]
	v_add_f64 v[6:7], v[6:7], v[8:9]
	v_mul_f64 v[8:9], v[168:169], s[10:11]
	v_add_f64 v[10:11], v[10:11], -v[230:231]
	v_add_f64 v[12:13], v[12:13], v[14:15]
	v_mul_f64 v[14:15], v[130:131], s[8:9]
	v_add_f64 v[2:3], v[248:249], v[2:3]
	v_add_f64 v[4:5], v[4:5], v[6:7]
	v_mul_f64 v[6:7], v[176:177], s[22:23]
	v_add_f64 v[8:9], v[8:9], -v[234:235]
	v_add_f64 v[10:11], v[10:11], v[12:13]
	v_mul_f64 v[12:13], v[142:143], s[20:21]
	v_add_f64 v[14:15], v[174:175], v[14:15]
	v_mul_f64 v[18:19], v[128:129], s[8:9]
	v_add_f64 v[2:3], v[2:3], v[4:5]
	v_mul_f64 v[4:5], v[190:191], s[6:7]
	v_add_f64 v[6:7], v[6:7], -v[238:239]
	v_add_f64 v[8:9], v[8:9], v[10:11]
	v_mul_f64 v[10:11], v[150:151], s[10:11]
	v_add_f64 v[12:13], v[184:185], v[12:13]
	v_add_f64 v[14:15], v[22:23], v[14:15]
	v_mul_f64 v[16:17], v[140:141], s[20:21]
	v_add_f64 v[18:19], v[18:19], -v[112:113]
	v_add_f64 v[4:5], v[4:5], -v[242:243]
	v_add_f64 v[6:7], v[6:7], v[8:9]
	v_mul_f64 v[8:9], v[156:157], s[6:7]
	v_add_f64 v[10:11], v[188:189], v[10:11]
	v_add_f64 v[12:13], v[12:13], v[14:15]
	v_mul_f64 v[14:15], v[148:149], s[10:11]
	v_add_f64 v[16:17], v[16:17], -v[114:115]
	v_add_f64 v[18:19], v[20:21], v[18:19]
	v_add_f64 v[108:109], v[4:5], v[6:7]
	v_mul_f64 v[6:7], v[164:165], s[22:23]
	v_add_f64 v[8:9], v[200:201], v[8:9]
	v_add_f64 v[10:11], v[10:11], v[12:13]
	v_mul_f64 v[12:13], v[154:155], s[6:7]
	v_add_f64 v[14:15], v[14:15], -v[160:161]
	v_add_f64 v[16:17], v[16:17], v[18:19]
	v_mul_f64 v[4:5], v[170:171], s[16:17]
	v_add_f64 v[6:7], v[206:207], v[6:7]
	v_add_f64 v[8:9], v[8:9], v[10:11]
	v_mul_f64 v[10:11], v[162:163], s[22:23]
	v_add_f64 v[12:13], v[12:13], -v[166:167]
	v_add_f64 v[14:15], v[14:15], v[16:17]
	v_add_f64 v[4:5], v[208:209], v[4:5]
	v_add_f64 v[6:7], v[6:7], v[8:9]
	v_mul_f64 v[8:9], v[168:169], s[16:17]
	v_add_f64 v[10:11], v[10:11], -v[180:181]
	v_add_f64 v[12:13], v[12:13], v[14:15]
	v_add_f64 v[4:5], v[4:5], v[6:7]
	v_mul_f64 v[6:7], v[176:177], s[2:3]
	v_add_f64 v[8:9], v[8:9], -v[186:187]
	v_add_f64 v[10:11], v[10:11], v[12:13]
	v_add_f64 v[6:7], v[6:7], -v[198:199]
	v_add_f64 v[8:9], v[8:9], v[10:11]
	v_accvgpr_read_b32 v10, a144
	v_add_f64 v[6:7], v[6:7], v[8:9]
	v_mul_f64 v[8:9], v[156:157], s[2:3]
	v_accvgpr_read_b32 v11, a145
	v_accvgpr_read_b32 v12, a140
	v_mul_f64 v[0:1], v[204:205], s[6:7]
	v_add_f64 v[8:9], v[10:11], v[8:9]
	v_mul_f64 v[10:11], v[150:151], s[8:9]
	v_accvgpr_read_b32 v13, a141
	v_accvgpr_read_b32 v14, a136
	v_add_f64 v[0:1], v[250:251], v[0:1]
	v_add_f64 v[10:11], v[12:13], v[10:11]
	v_mul_f64 v[12:13], v[142:143], s[22:23]
	v_accvgpr_read_b32 v15, a137
	v_accvgpr_read_b32 v16, a132
	v_add_f64 v[110:111], v[0:1], v[2:3]
	v_mul_f64 v[2:3], v[178:179], s[2:3]
	v_add_f64 v[12:13], v[14:15], v[12:13]
	v_mul_f64 v[14:15], v[130:131], s[16:17]
	v_accvgpr_read_b32 v17, a133
	v_add_f64 v[2:3], v[212:213], v[2:3]
	v_add_f64 v[14:15], v[16:17], v[14:15]
	;; [unrolled: 1-line block ×3, first 2 shown]
	v_mul_f64 v[4:5], v[190:191], s[18:19]
	v_add_f64 v[14:15], v[22:23], v[14:15]
	v_add_f64 v[4:5], v[4:5], -v[202:203]
	v_add_f64 v[12:13], v[12:13], v[14:15]
	v_add_f64 v[112:113], v[4:5], v[6:7]
	v_mul_f64 v[6:7], v[164:165], s[6:7]
	v_add_f64 v[10:11], v[10:11], v[12:13]
	v_mul_f64 v[4:5], v[170:171], s[20:21]
	v_add_f64 v[6:7], v[144:145], v[6:7]
	v_add_f64 v[8:9], v[8:9], v[10:11]
	v_add_f64 v[4:5], v[146:147], v[4:5]
	v_add_f64 v[6:7], v[6:7], v[8:9]
	v_accvgpr_read_b32 v8, a142
	v_add_f64 v[4:5], v[4:5], v[6:7]
	v_mul_f64 v[6:7], v[176:177], s[18:19]
	v_accvgpr_read_b32 v9, a143
	v_accvgpr_read_b32 v10, a138
	v_add_f64 v[6:7], v[6:7], -v[8:9]
	v_mul_f64 v[8:9], v[168:169], s[20:21]
	v_accvgpr_read_b32 v11, a139
	v_accvgpr_read_b32 v12, a134
	v_add_f64 v[8:9], v[8:9], -v[10:11]
	;; [unrolled: 4-line block ×6, first 2 shown]
	v_mul_f64 v[18:19], v[128:129], s[16:17]
	v_accvgpr_read_b32 v117, a125
	v_add_f64 v[18:19], v[18:19], -v[116:117]
	v_add_f64 v[18:19], v[20:21], v[18:19]
	v_mul_f64 v[0:1], v[204:205], s[18:19]
	v_add_f64 v[16:17], v[16:17], v[18:19]
	v_add_f64 v[0:1], v[216:217], v[0:1]
	;; [unrolled: 1-line block ×4, first 2 shown]
	v_mul_f64 v[2:3], v[178:179], s[18:19]
	v_add_f64 v[12:13], v[12:13], v[14:15]
	v_mul_f64 v[0:1], v[204:205], s[10:11]
	v_add_f64 v[2:3], v[152:153], v[2:3]
	v_add_f64 v[10:11], v[10:11], v[12:13]
	;; [unrolled: 1-line block ×4, first 2 shown]
	v_mul_f64 v[4:5], v[190:191], s[10:11]
	v_add_f64 v[8:9], v[8:9], v[10:11]
	v_add_f64 v[4:5], v[4:5], -v[138:139]
	v_add_f64 v[6:7], v[6:7], v[8:9]
	v_add_f64 v[118:119], v[0:1], v[2:3]
	v_accvgpr_read_b32 v2, a122
	v_add_f64 v[116:117], v[4:5], v[6:7]
	v_mul_f64 v[0:1], v[204:205], s[20:21]
	v_accvgpr_read_b32 v3, a123
	v_accvgpr_read_b32 v4, a120
	v_add_f64 v[0:1], v[2:3], v[0:1]
	v_mul_f64 v[2:3], v[178:179], s[16:17]
	v_accvgpr_read_b32 v5, a121
	;; [unrolled: 4-line block ×8, first 2 shown]
	v_add_f64 v[14:15], v[16:17], v[14:15]
	v_add_f64 v[14:15], v[22:23], v[14:15]
	;; [unrolled: 1-line block ×12, first 2 shown]
	v_accvgpr_read_b32 v127, a111
	v_mul_f64 v[132:133], v[190:191], s[16:17]
	v_mul_f64 v[16:17], v[128:129], s[2:3]
	;; [unrolled: 1-line block ×4, first 2 shown]
	v_add_f64 v[2:3], v[2:3], v[4:5]
	v_mul_f64 v[4:5], v[190:191], s[20:21]
	v_accvgpr_read_b32 v126, a110
	v_accvgpr_read_b32 v129, a105
	v_add_f64 v[132:133], v[132:133], -v[172:173]
	v_mul_f64 v[14:15], v[130:131], s[2:3]
	v_mul_f64 v[18:19], v[130:131], s[10:11]
	v_add_f64 v[4:5], v[4:5], -v[126:127]
	v_mul_f64 v[126:127], v[176:177], s[16:17]
	v_accvgpr_read_b32 v128, a104
	v_accvgpr_read_b32 v131, a103
	v_add_f64 v[100:101], v[132:133], v[100:101]
	v_add_f64 v[126:127], v[126:127], -v[128:129]
	v_mul_f64 v[128:129], v[168:169], s[2:3]
	v_accvgpr_read_b32 v130, a102
	v_accvgpr_read_b32 v133, a101
	;; [unrolled: 1-line block ×3, first 2 shown]
	v_add_f64 v[128:129], v[128:129], -v[130:131]
	v_mul_f64 v[130:131], v[162:163], s[10:11]
	v_accvgpr_read_b32 v132, a100
	v_accvgpr_read_b32 v135, a99
	v_accvgpr_read_b32 v139, a95
	v_accvgpr_read_b32 v144, a92
	v_mul_f64 v[124:125], v[140:141], s[18:19]
	v_add_f64 v[130:131], v[130:131], -v[132:133]
	v_mul_f64 v[132:133], v[154:155], s[8:9]
	v_accvgpr_read_b32 v134, a98
	v_accvgpr_read_b32 v137, a97
	v_accvgpr_read_b32 v138, a94
	v_add_f64 v[120:121], v[120:121], -v[144:145]
	v_add_f64 v[132:133], v[132:133], -v[134:135]
	v_mul_f64 v[134:135], v[148:149], s[22:23]
	v_accvgpr_read_b32 v136, a96
	v_add_f64 v[124:125], v[124:125], -v[138:139]
	v_add_f64 v[120:121], v[20:21], v[120:121]
	v_add_f64 v[134:135], v[134:135], -v[136:137]
	v_add_f64 v[120:121], v[124:125], v[120:121]
	v_add_f64 v[120:121], v[134:135], v[120:121]
	;; [unrolled: 1-line block ×3, first 2 shown]
	v_mul_f64 v[144:145], v[154:155], s[16:17]
	v_mul_f64 v[146:147], v[154:155], s[22:23]
	v_add_f64 v[120:121], v[130:131], v[120:121]
	v_mul_f64 v[130:131], v[168:169], s[18:19]
	v_mul_f64 v[154:155], v[168:169], s[8:9]
	v_accvgpr_read_b32 v169, a89
	v_mul_f64 v[158:159], v[178:179], s[6:7]
	v_accvgpr_read_b32 v168, a88
	v_add_f64 v[158:159], v[168:169], v[158:159]
	v_accvgpr_read_b32 v169, a87
	v_mul_f64 v[122:123], v[140:141], s[10:11]
	v_mul_f64 v[10:11], v[140:141], s[16:17]
	;; [unrolled: 1-line block ×7, first 2 shown]
	v_accvgpr_read_b32 v168, a86
	v_add_f64 v[156:157], v[168:169], v[156:157]
	v_accvgpr_read_b32 v169, a83
	v_mul_f64 v[152:153], v[164:165], s[20:21]
	v_accvgpr_read_b32 v168, a82
	v_add_f64 v[152:153], v[168:169], v[152:153]
	v_accvgpr_read_b32 v169, a79
	v_accvgpr_read_b32 v168, a78
	v_add_f64 v[148:149], v[168:169], v[148:149]
	v_accvgpr_read_b32 v169, a75
	v_mul_f64 v[8:9], v[142:143], s[10:11]
	v_mul_f64 v[6:7], v[142:143], s[16:17]
	;; [unrolled: 1-line block ×3, first 2 shown]
	v_accvgpr_read_b32 v168, a74
	v_add_f64 v[142:143], v[168:169], v[142:143]
	v_accvgpr_read_b32 v169, a71
	v_accvgpr_read_b32 v168, a70
	v_add_f64 v[6:7], v[168:169], v[6:7]
	v_accvgpr_read_b32 v169, a69
	v_accvgpr_read_b32 v168, a68
	v_add_f64 v[18:19], v[168:169], v[18:19]
	v_add_f64 v[18:19], v[22:23], v[18:19]
	;; [unrolled: 1-line block ×5, first 2 shown]
	v_accvgpr_read_b32 v149, a73
	v_mul_f64 v[138:139], v[150:151], s[6:7]
	v_mul_f64 v[150:151], v[162:163], s[20:21]
	v_accvgpr_read_b32 v148, a72
	v_add_f64 v[148:149], v[150:151], -v[148:149]
	v_accvgpr_read_b32 v151, a67
	v_accvgpr_read_b32 v150, a66
	v_add_f64 v[146:147], v[146:147], -v[150:151]
	v_accvgpr_read_b32 v151, a65
	;; [unrolled: 3-line block ×4, first 2 shown]
	v_accvgpr_read_b32 v150, a60
	v_add_f64 v[120:121], v[128:129], v[120:121]
	v_add_f64 v[12:13], v[12:13], -v[150:151]
	v_add_f64 v[120:121], v[126:127], v[120:121]
	v_accvgpr_read_b32 v143, a81
	v_add_f64 v[12:13], v[20:21], v[12:13]
	v_add_f64 v[2:3], v[0:1], v[2:3]
	;; [unrolled: 1-line block ×3, first 2 shown]
	v_mul_f64 v[4:5], v[176:177], s[6:7]
	v_accvgpr_read_b32 v142, a80
	v_add_f64 v[10:11], v[10:11], v[12:13]
	v_add_f64 v[4:5], v[4:5], -v[142:143]
	v_accvgpr_read_b32 v143, a77
	v_add_f64 v[10:11], v[140:141], v[10:11]
	v_accvgpr_read_b32 v142, a76
	v_add_f64 v[10:11], v[146:147], v[10:11]
	v_accvgpr_read_b32 v12, a52
	v_mul_f64 v[120:121], v[178:179], s[20:21]
	v_accvgpr_read_b32 v18, a84
	v_add_f64 v[142:143], v[154:155], -v[142:143]
	v_add_f64 v[10:11], v[148:149], v[10:11]
	v_accvgpr_read_b32 v13, a53
	v_mul_f64 v[166:167], v[190:191], s[2:3]
	v_accvgpr_read_b32 v19, a85
	v_add_f64 v[10:11], v[142:143], v[10:11]
	v_add_f64 v[12:13], v[12:13], v[120:121]
	v_accvgpr_read_b32 v121, a45
	v_mul_f64 v[132:133], v[164:165], s[8:9]
	v_add_f64 v[18:19], v[166:167], -v[18:19]
	v_add_f64 v[4:5], v[4:5], v[10:11]
	v_accvgpr_read_b32 v120, a44
	v_add_f64 v[4:5], v[18:19], v[4:5]
	v_accvgpr_read_b32 v18, a48
	;; [unrolled: 2-line block ×3, first 2 shown]
	v_mul_f64 v[128:129], v[170:171], s[18:19]
	v_accvgpr_read_b32 v19, a49
	v_accvgpr_read_b32 v132, a32
	v_add_f64 v[18:19], v[18:19], v[128:129]
	v_accvgpr_read_b32 v129, a41
	v_add_f64 v[8:9], v[132:133], v[8:9]
	v_accvgpr_read_b32 v133, a29
	v_accvgpr_read_b32 v128, a40
	;; [unrolled: 1-line block ×3, first 2 shown]
	v_add_f64 v[124:125], v[128:129], v[124:125]
	v_accvgpr_read_b32 v129, a37
	v_add_f64 v[14:15], v[132:133], v[14:15]
	v_accvgpr_read_b32 v128, a36
	v_add_f64 v[14:15], v[22:23], v[14:15]
	v_add_f64 v[128:129], v[128:129], v[138:139]
	;; [unrolled: 1-line block ×8, first 2 shown]
	v_accvgpr_read_b32 v12, a50
	v_mul_f64 v[126:127], v[176:177], s[20:21]
	v_accvgpr_read_b32 v13, a51
	v_add_f64 v[12:13], v[126:127], -v[12:13]
	v_accvgpr_read_b32 v127, a31
	v_accvgpr_read_b32 v126, a30
	v_add_f64 v[122:123], v[122:123], -v[126:127]
	v_accvgpr_read_b32 v127, a27
	v_accvgpr_read_b32 v126, a26
	;; [unrolled: 1-line block ×3, first 2 shown]
	v_add_f64 v[16:17], v[16:17], -v[126:127]
	v_accvgpr_read_b32 v121, a39
	v_accvgpr_read_b32 v124, a34
	v_add_f64 v[16:17], v[20:21], v[16:17]
	v_accvgpr_read_b32 v10, a56
	v_accvgpr_read_b32 v18, a42
	;; [unrolled: 1-line block ×3, first 2 shown]
	v_add_f64 v[124:125], v[136:137], -v[124:125]
	v_add_f64 v[16:17], v[122:123], v[16:17]
	v_mul_f64 v[134:135], v[162:163], s[8:9]
	v_mul_f64 v[164:165], v[204:205], s[22:23]
	v_accvgpr_read_b32 v11, a57
	v_accvgpr_read_b32 v14, a46
	;; [unrolled: 1-line block ×3, first 2 shown]
	v_add_f64 v[120:121], v[144:145], -v[120:121]
	v_add_f64 v[16:17], v[124:125], v[16:17]
	v_accvgpr_read_b32 v163, a91
	v_add_f64 v[10:11], v[10:11], v[164:165]
	v_accvgpr_read_b32 v15, a47
	v_add_f64 v[18:19], v[134:135], -v[18:19]
	v_add_f64 v[16:17], v[120:121], v[16:17]
	v_mul_f64 v[160:161], v[204:205], s[2:3]
	v_accvgpr_read_b32 v162, a90
	v_add_f64 v[10:11], v[10:11], v[8:9]
	v_accvgpr_read_b32 v8, a54
	v_add_f64 v[14:15], v[130:131], -v[14:15]
	v_add_f64 v[16:17], v[18:19], v[16:17]
	v_add_f64 v[160:161], v[162:163], v[160:161]
	v_mul_f64 v[162:163], v[190:191], s[22:23]
	v_accvgpr_read_b32 v9, a55
	v_add_f64 v[14:15], v[14:15], v[16:17]
	v_add_f64 v[8:9], v[162:163], -v[8:9]
	v_add_f64 v[12:13], v[12:13], v[14:15]
	v_add_f64 v[8:9], v[8:9], v[12:13]
	;; [unrolled: 1-line block ×35, first 2 shown]
	v_accvgpr_read_b32 v16, a3
	v_accvgpr_read_b32 v17, a58
	v_add_f64 v[6:7], v[158:159], v[6:7]
	v_add_f64 v[12:13], v[12:13], v[84:85]
	v_add_lshl_u32 v16, v17, v16, 4
	v_add_f64 v[6:7], v[160:161], v[6:7]
	ds_write_b128 v16, v[12:15]
	ds_write_b128 v16, v[8:11] offset:16
	ds_write_b128 v16, v[4:7] offset:32
	;; [unrolled: 1-line block ×16, first 2 shown]
.LBB0_7:
	s_or_b64 exec, exec, s[26:27]
	v_accvgpr_read_b32 v0, a4
	v_accvgpr_read_b32 v1, a58
	v_add_lshl_u32 v160, v1, v0, 4
	s_waitcnt lgkmcnt(0)
	s_barrier
	ds_read_b128 v[60:63], v160
	ds_read_b128 v[56:59], v160 offset:816
	ds_read_b128 v[64:67], v160 offset:5984
	;; [unrolled: 1-line block ×8, first 2 shown]
	v_cmp_gt_u16_e64 s[2:3], 34, v0
	s_and_saveexec_b64 s[6:7], s[2:3]
	s_cbranch_execz .LBB0_9
; %bb.8:
	ds_read_b128 v[88:91], v160 offset:2448
	ds_read_b128 v[96:99], v160 offset:5440
	ds_read_b128 v[92:95], v160 offset:8432
.LBB0_9:
	s_or_b64 exec, exec, s[6:7]
	v_accvgpr_read_b32 v4, a4
	s_movk_i32 s6, 0xf1
	v_add_u16_e32 v0, 51, v4
	v_mul_lo_u16_sdwa v1, v0, s6 dst_sel:DWORD dst_unused:UNUSED_PAD src0_sel:BYTE_0 src1_sel:DWORD
	v_lshrrev_b16_e32 v46, 12, v1
	v_mul_lo_u16_e32 v1, 17, v46
	v_sub_u16_e32 v47, v0, v1
	v_mov_b32_e32 v0, 5
	v_lshlrev_b32_sdwa v1, v0, v47 dst_sel:DWORD dst_unused:UNUSED_PAD src0_sel:DWORD src1_sel:BYTE_0
	global_load_dwordx4 v[34:37], v1, s[0:1] offset:16
	global_load_dwordx4 v[40:43], v1, s[0:1]
	v_add_u16_e32 v1, 0x66, v4
	v_mul_lo_u16_sdwa v2, v1, s6 dst_sel:DWORD dst_unused:UNUSED_PAD src0_sel:BYTE_0 src1_sel:DWORD
	v_lshrrev_b16_e32 v48, 12, v2
	v_mul_lo_u16_e32 v2, 17, v48
	v_sub_u16_e32 v49, v1, v2
	v_lshlrev_b32_sdwa v1, v0, v49 dst_sel:DWORD dst_unused:UNUSED_PAD src0_sel:DWORD src1_sel:BYTE_0
	global_load_dwordx4 v[102:105], v1, s[0:1] offset:16
	global_load_dwordx4 v[106:109], v1, s[0:1]
	v_add_u16_e32 v1, 0x99, v4
	v_mul_lo_u16_sdwa v2, v1, s6 dst_sel:DWORD dst_unused:UNUSED_PAD src0_sel:BYTE_0 src1_sel:DWORD
	v_lshrrev_b16_e32 v50, 12, v2
	v_mul_lo_u16_e32 v2, 17, v50
	v_sub_u16_e32 v1, v1, v2
	v_lshlrev_b32_sdwa v0, v0, v1 dst_sel:DWORD dst_unused:UNUSED_PAD src0_sel:DWORD src1_sel:BYTE_0
	global_load_dwordx4 v[28:31], v0, s[0:1]
	global_load_dwordx4 v[24:27], v0, s[0:1] offset:16
	v_mul_lo_u16_sdwa v0, v4, s6 dst_sel:DWORD dst_unused:UNUSED_PAD src0_sel:BYTE_0 src1_sel:DWORD
	v_lshrrev_b16_e32 v51, 12, v0
	v_mul_lo_u16_e32 v0, 17, v51
	v_sub_u16_e32 v100, v4, v0
	v_lshlrev_b16_e32 v0, 1, v100
	v_and_b32_e32 v0, 0xfe, v0
	v_lshlrev_b32_e32 v0, 4, v0
	global_load_dwordx4 v[114:117], v0, s[0:1]
	global_load_dwordx4 v[110:113], v0, s[0:1] offset:16
	v_accvgpr_write_b32 a5, v1
	s_mov_b32 s6, 0xe8584caa
	s_mov_b32 s7, 0x3febb67a
	;; [unrolled: 1-line block ×4, first 2 shown]
	s_load_dwordx4 s[8:11], s[24:25], 0x0
	s_waitcnt lgkmcnt(0)
	s_barrier
	s_waitcnt vmcnt(7)
	v_mul_f64 v[10:11], v[72:73], v[36:37]
	s_waitcnt vmcnt(6)
	v_mul_f64 v[4:5], v[86:87], v[42:43]
	v_fma_f64 v[22:23], v[84:85], v[40:41], -v[4:5]
	v_mul_f64 v[8:9], v[84:85], v[42:43]
	v_accvgpr_write_b32 a38, v40
	v_mul_f64 v[6:7], v[74:75], v[36:37]
	v_accvgpr_write_b32 a39, v41
	v_accvgpr_write_b32 a40, v42
	;; [unrolled: 1-line block ×3, first 2 shown]
	v_fmac_f64_e32 v[8:9], v[86:87], v[40:41]
	v_fmac_f64_e32 v[10:11], v[74:75], v[34:35]
	s_waitcnt vmcnt(4)
	v_mul_f64 v[12:13], v[82:83], v[108:109]
	v_fma_f64 v[32:33], v[72:73], v[34:35], -v[6:7]
	v_mul_f64 v[16:17], v[78:79], v[104:105]
	s_waitcnt vmcnt(3)
	v_mul_f64 v[18:19], v[98:99], v[30:31]
	s_waitcnt vmcnt(2)
	v_accvgpr_write_b32 a29, v27
	v_mul_f64 v[20:21], v[94:95], v[26:27]
	v_mul_f64 v[2:3], v[92:93], v[26:27]
	v_fma_f64 v[4:5], v[96:97], v[28:29], -v[18:19]
	v_accvgpr_write_b32 a28, v26
	v_accvgpr_write_b32 a27, v25
	;; [unrolled: 1-line block ×3, first 2 shown]
	s_waitcnt vmcnt(1)
	v_mul_f64 v[18:19], v[68:69], v[116:117]
	s_waitcnt vmcnt(0)
	v_mul_f64 v[26:27], v[64:65], v[112:113]
	v_fmac_f64_e32 v[18:19], v[70:71], v[114:115]
	v_fmac_f64_e32 v[26:27], v[66:67], v[110:111]
	v_accvgpr_write_b32 a33, v31
	v_add_f64 v[42:43], v[18:19], -v[26:27]
	v_add_f64 v[44:45], v[62:63], v[18:19]
	v_add_f64 v[18:19], v[18:19], v[26:27]
	v_mul_f64 v[0:1], v[96:97], v[30:31]
	v_accvgpr_write_b32 a32, v30
	v_accvgpr_write_b32 a31, v29
	;; [unrolled: 1-line block ×3, first 2 shown]
	v_add_f64 v[30:31], v[8:9], -v[10:11]
	v_fmac_f64_e32 v[62:63], -0.5, v[18:19]
	v_add_f64 v[18:19], v[58:59], v[8:9]
	v_add_f64 v[8:9], v[8:9], v[10:11]
	v_fma_f64 v[12:13], v[80:81], v[106:107], -v[12:13]
	v_fmac_f64_e32 v[58:59], -0.5, v[8:9]
	v_add_f64 v[8:9], v[22:23], -v[32:33]
	v_mul_f64 v[14:15], v[80:81], v[108:109]
	v_mul_f64 v[38:39], v[76:77], v[104:105]
	v_accvgpr_write_b32 a34, v34
	v_fma_f64 v[40:41], v[76:77], v[102:103], -v[16:17]
	v_fmac_f64_e32 v[0:1], v[98:99], v[28:29]
	v_fma_f64 v[6:7], v[92:93], v[24:25], -v[20:21]
	v_fmac_f64_e32 v[2:3], v[94:95], v[24:25]
	v_mul_f64 v[16:17], v[70:71], v[116:117]
	v_add_f64 v[24:25], v[56:57], v[22:23]
	v_add_f64 v[28:29], v[22:23], v[32:33]
	v_fma_f64 v[22:23], s[16:17], v[8:9], v[58:59]
	v_fmac_f64_e32 v[58:59], s[6:7], v[8:9]
	v_add_f64 v[8:9], v[52:53], v[12:13]
	v_accvgpr_write_b32 a35, v35
	v_accvgpr_write_b32 a36, v36
	;; [unrolled: 1-line block ×3, first 2 shown]
	v_fmac_f64_e32 v[14:15], v[82:83], v[106:107]
	v_fmac_f64_e32 v[38:39], v[78:79], v[102:103]
	v_mul_f64 v[20:21], v[66:67], v[112:113]
	v_fma_f64 v[34:35], v[68:69], v[114:115], -v[16:17]
	v_add_f64 v[16:17], v[24:25], v[32:33]
	v_add_f64 v[32:33], v[8:9], v[40:41]
	v_add_f64 v[8:9], v[12:13], v[40:41]
	v_fma_f64 v[36:37], v[64:65], v[110:111], -v[20:21]
	v_add_f64 v[24:25], v[60:61], v[34:35]
	v_fmac_f64_e32 v[52:53], -0.5, v[8:9]
	v_add_f64 v[8:9], v[14:15], -v[38:39]
	v_fmac_f64_e32 v[56:57], -0.5, v[28:29]
	v_add_f64 v[28:29], v[34:35], v[36:37]
	v_add_f64 v[34:35], v[34:35], -v[36:37]
	v_add_f64 v[24:25], v[24:25], v[36:37]
	v_fma_f64 v[36:37], s[6:7], v[8:9], v[52:53]
	v_fmac_f64_e32 v[52:53], s[16:17], v[8:9]
	v_add_f64 v[8:9], v[54:55], v[14:15]
	v_fma_f64 v[20:21], s[6:7], v[30:31], v[56:57]
	v_fmac_f64_e32 v[56:57], s[16:17], v[30:31]
	v_fma_f64 v[30:31], s[16:17], v[34:35], v[62:63]
	v_fmac_f64_e32 v[62:63], s[6:7], v[34:35]
	v_add_f64 v[34:35], v[8:9], v[38:39]
	v_add_f64 v[8:9], v[14:15], v[38:39]
	v_fmac_f64_e32 v[54:55], -0.5, v[8:9]
	v_add_f64 v[8:9], v[12:13], -v[40:41]
	v_mad_legacy_u16 v40, v51, 51, v100
	v_and_b32_e32 v40, 0xff, v40
	v_accvgpr_read_b32 v41, a58
	v_fmac_f64_e32 v[60:61], -0.5, v[28:29]
	v_add_f64 v[26:27], v[44:45], v[26:27]
	v_add_lshl_u32 v40, v41, v40, 4
	v_fma_f64 v[28:29], s[6:7], v[42:43], v[60:61]
	ds_write_b128 v40, v[24:27]
	ds_write_b128 v40, v[28:31] offset:272
	v_mul_u32_u24_e32 v24, 51, v46
	v_add_u32_sdwa v24, v24, v47 dst_sel:DWORD dst_unused:UNUSED_PAD src0_sel:DWORD src1_sel:BYTE_0
	v_fmac_f64_e32 v[60:61], s[16:17], v[42:43]
	v_add_f64 v[18:19], v[18:19], v[10:11]
	v_add_lshl_u32 v161, v41, v24, 4
	ds_write_b128 v40, v[60:63] offset:544
	ds_write_b128 v161, v[16:19]
	ds_write_b128 v161, v[20:23] offset:272
	ds_write_b128 v161, v[56:59] offset:544
	v_mul_u32_u24_e32 v16, 51, v48
	v_fma_f64 v[38:39], s[16:17], v[8:9], v[54:55]
	v_fmac_f64_e32 v[54:55], s[6:7], v[8:9]
	v_add_f64 v[8:9], v[4:5], v[6:7]
	v_add_f64 v[12:13], v[0:1], v[2:3]
	v_add_u32_sdwa v16, v16, v49 dst_sel:DWORD dst_unused:UNUSED_PAD src0_sel:DWORD src1_sel:BYTE_0
	v_accvgpr_write_b32 a46, v106
	v_accvgpr_write_b32 a42, v102
	v_accvgpr_write_b32 a54, v114
	v_accvgpr_write_b32 a50, v110
	v_fma_f64 v[8:9], -0.5, v[8:9], v[88:89]
	v_add_f64 v[10:11], v[0:1], -v[2:3]
	v_fma_f64 v[12:13], -0.5, v[12:13], v[90:91]
	v_add_f64 v[14:15], v[4:5], -v[6:7]
	v_add_lshl_u32 v59, v41, v16, 4
	v_mul_u32_u24_e32 v16, 51, v50
	v_accvgpr_write_b32 a47, v107
	v_accvgpr_write_b32 a48, v108
	;; [unrolled: 1-line block ×12, first 2 shown]
	v_fma_f64 v[92:93], s[16:17], v[10:11], v[8:9]
	v_fma_f64 v[94:95], s[6:7], v[14:15], v[12:13]
	v_accvgpr_write_b32 a59, v40
	v_accvgpr_write_b32 a58, v16
	ds_write_b128 v59, v[32:35]
	ds_write_b128 v59, v[36:39] offset:272
	ds_write_b128 v59, v[52:55] offset:544
	s_mov_b64 s[16:17], exec
	v_accvgpr_read_b32 v151, a9
	v_accvgpr_read_b32 v67, a13
	;; [unrolled: 1-line block ×5, first 2 shown]
	s_and_b64 s[18:19], s[16:17], s[2:3]
	v_accvgpr_read_b32 v150, a8
	v_accvgpr_read_b32 v149, a7
	;; [unrolled: 1-line block ×15, first 2 shown]
	s_mov_b64 exec, s[18:19]
	s_cbranch_execz .LBB0_11
; %bb.10:
	v_add_f64 v[0:1], v[90:91], v[0:1]
	v_add_f64 v[2:3], v[0:1], v[2:3]
	;; [unrolled: 1-line block ×3, first 2 shown]
	v_accvgpr_read_b32 v4, a5
	v_accvgpr_read_b32 v5, a58
	v_add_u32_sdwa v4, v5, v4 dst_sel:DWORD dst_unused:UNUSED_PAD src0_sel:DWORD src1_sel:BYTE_0
	v_mul_f64 v[16:17], v[10:11], s[6:7]
	v_mul_f64 v[10:11], v[14:15], s[6:7]
	v_add_f64 v[0:1], v[0:1], v[6:7]
	v_add_lshl_u32 v4, v41, v4, 4
	v_add_f64 v[10:11], v[12:13], -v[10:11]
	v_add_f64 v[8:9], v[16:17], v[8:9]
	ds_write_b128 v4, v[0:3]
	ds_write_b128 v4, v[8:11] offset:272
	ds_write_b128 v4, v[92:95] offset:544
.LBB0_11:
	s_or_b64 exec, exec, s[16:17]
	s_movk_i32 s6, 0xa0
	v_mov_b64_e32 v[0:1], s[0:1]
	v_accvgpr_read_b32 v58, a4
	v_mad_u64_u32 v[0:1], s[0:1], v58, s6, v[0:1]
	s_waitcnt lgkmcnt(0)
	s_barrier
	global_load_dwordx4 v[126:129], v[0:1], off offset:544
	global_load_dwordx4 v[122:125], v[0:1], off offset:560
	;; [unrolled: 1-line block ×10, first 2 shown]
	ds_read_b128 v[12:15], v160
	ds_read_b128 v[0:3], v160 offset:816
	ds_read_b128 v[8:11], v160 offset:1632
	;; [unrolled: 1-line block ×10, first 2 shown]
	s_mov_b32 s20, 0xf8bb580b
	s_mov_b32 s18, 0x43842ef
	;; [unrolled: 1-line block ×26, first 2 shown]
	s_waitcnt vmcnt(9) lgkmcnt(9)
	v_mul_f64 v[48:49], v[2:3], v[128:129]
	v_mul_f64 v[50:51], v[0:1], v[128:129]
	s_waitcnt vmcnt(8) lgkmcnt(8)
	v_mul_f64 v[52:53], v[10:11], v[124:125]
	v_mul_f64 v[54:55], v[8:9], v[124:125]
	;; [unrolled: 3-line block ×3, first 2 shown]
	v_fma_f64 v[48:49], v[0:1], v[126:127], -v[48:49]
	v_fmac_f64_e32 v[50:51], v[2:3], v[126:127]
	v_mul_f64 v[56:57], v[18:19], v[78:79]
	v_mul_f64 v[104:105], v[16:17], v[78:79]
	v_fma_f64 v[52:53], v[8:9], v[122:123], -v[52:53]
	v_fmac_f64_e32 v[54:55], v[10:11], v[122:123]
	v_fma_f64 v[0:1], v[24:25], v[80:81], -v[98:99]
	v_fmac_f64_e32 v[100:101], v[26:27], v[80:81]
	v_add_f64 v[24:25], v[12:13], v[48:49]
	v_add_f64 v[26:27], v[14:15], v[50:51]
	v_mul_f64 v[96:97], v[22:23], v[74:75]
	v_mul_f64 v[4:5], v[20:21], v[74:75]
	v_fma_f64 v[16:17], v[16:17], v[76:77], -v[56:57]
	v_fmac_f64_e32 v[104:105], v[18:19], v[76:77]
	v_add_f64 v[24:25], v[24:25], v[52:53]
	v_add_f64 v[26:27], v[26:27], v[54:55]
	v_fma_f64 v[8:9], v[20:21], v[72:73], -v[96:97]
	v_fmac_f64_e32 v[4:5], v[22:23], v[72:73]
	v_add_f64 v[24:25], v[24:25], v[16:17]
	v_add_f64 v[26:27], v[26:27], v[104:105]
	s_waitcnt vmcnt(4) lgkmcnt(4)
	v_mul_f64 v[106:107], v[30:31], v[140:141]
	v_mul_f64 v[102:103], v[28:29], v[140:141]
	v_add_f64 v[24:25], v[24:25], v[8:9]
	v_add_f64 v[26:27], v[26:27], v[4:5]
	s_waitcnt vmcnt(3) lgkmcnt(3)
	v_mul_f64 v[108:109], v[34:35], v[136:137]
	v_mul_f64 v[6:7], v[32:33], v[136:137]
	v_fma_f64 v[2:3], v[28:29], v[138:139], -v[106:107]
	v_fmac_f64_e32 v[102:103], v[30:31], v[138:139]
	v_add_f64 v[24:25], v[24:25], v[0:1]
	v_add_f64 v[26:27], v[26:27], v[100:101]
	s_waitcnt vmcnt(2) lgkmcnt(2)
	v_mul_f64 v[110:111], v[38:39], v[132:133]
	v_mul_f64 v[112:113], v[36:37], v[132:133]
	v_fma_f64 v[10:11], v[32:33], v[134:135], -v[108:109]
	v_fmac_f64_e32 v[6:7], v[34:35], v[134:135]
	v_add_f64 v[24:25], v[24:25], v[2:3]
	v_add_f64 v[26:27], v[26:27], v[102:103]
	s_waitcnt vmcnt(1) lgkmcnt(1)
	v_mul_f64 v[114:115], v[42:43], v[90:91]
	v_mul_f64 v[116:117], v[40:41], v[90:91]
	s_waitcnt vmcnt(0) lgkmcnt(0)
	v_mul_f64 v[118:119], v[46:47], v[86:87]
	v_mul_f64 v[120:121], v[44:45], v[86:87]
	v_fma_f64 v[18:19], v[36:37], v[130:131], -v[110:111]
	v_fmac_f64_e32 v[112:113], v[38:39], v[130:131]
	v_add_f64 v[24:25], v[24:25], v[10:11]
	v_add_f64 v[26:27], v[26:27], v[6:7]
	v_fma_f64 v[20:21], v[40:41], v[88:89], -v[114:115]
	v_fmac_f64_e32 v[116:117], v[42:43], v[88:89]
	v_fma_f64 v[22:23], v[44:45], v[84:85], -v[118:119]
	v_fmac_f64_e32 v[120:121], v[46:47], v[84:85]
	v_add_f64 v[24:25], v[24:25], v[18:19]
	v_add_f64 v[26:27], v[26:27], v[112:113]
	v_add_f64 v[32:33], v[48:49], -v[22:23]
	v_add_f64 v[34:35], v[50:51], -v[120:121]
	v_add_f64 v[24:25], v[24:25], v[20:21]
	v_add_f64 v[26:27], v[26:27], v[116:117]
	;; [unrolled: 1-line block ×6, first 2 shown]
	v_mul_f64 v[22:23], v[34:35], s[20:21]
	v_mul_f64 v[26:27], v[32:33], s[20:21]
	;; [unrolled: 1-line block ×10, first 2 shown]
	v_fma_f64 v[24:25], v[28:29], s[22:23], -v[22:23]
	v_fma_f64 v[36:37], s[22:23], v[30:31], v[26:27]
	v_fmac_f64_e32 v[22:23], s[22:23], v[28:29]
	v_fma_f64 v[26:27], v[30:31], s[22:23], -v[26:27]
	v_fma_f64 v[40:41], v[28:29], s[0:1], -v[38:39]
	v_fma_f64 v[44:45], s[0:1], v[30:31], v[42:43]
	v_fmac_f64_e32 v[38:39], s[0:1], v[28:29]
	v_fma_f64 v[42:43], v[30:31], s[0:1], -v[42:43]
	;; [unrolled: 4-line block ×5, first 2 shown]
	v_add_f64 v[32:33], v[54:55], -v[116:117]
	v_add_f64 v[24:25], v[12:13], v[24:25]
	v_add_f64 v[36:37], v[14:15], v[36:37]
	;; [unrolled: 1-line block ×21, first 2 shown]
	v_mul_f64 v[34:35], v[32:33], s[16:17]
	v_add_f64 v[20:21], v[52:53], -v[20:21]
	v_fma_f64 v[52:53], v[28:29], s[0:1], -v[34:35]
	v_add_f64 v[30:31], v[54:55], v[116:117]
	v_add_f64 v[24:25], v[52:53], v[24:25]
	v_mul_f64 v[52:53], v[20:21], s[16:17]
	v_fmac_f64_e32 v[34:35], s[0:1], v[28:29]
	v_add_f64 v[22:23], v[34:35], v[22:23]
	v_fma_f64 v[34:35], v[30:31], s[0:1], -v[52:53]
	v_add_f64 v[26:27], v[34:35], v[26:27]
	v_mul_f64 v[34:35], v[32:33], s[26:27]
	v_fma_f64 v[54:55], s[0:1], v[30:31], v[52:53]
	v_fma_f64 v[52:53], v[28:29], s[24:25], -v[34:35]
	v_add_f64 v[40:41], v[52:53], v[40:41]
	v_mul_f64 v[52:53], v[20:21], s[26:27]
	v_fmac_f64_e32 v[34:35], s[24:25], v[28:29]
	v_add_f64 v[34:35], v[34:35], v[38:39]
	v_fma_f64 v[38:39], v[30:31], s[24:25], -v[52:53]
	v_add_f64 v[38:39], v[38:39], v[42:43]
	v_mul_f64 v[42:43], v[32:33], s[38:39]
	v_add_f64 v[36:37], v[54:55], v[36:37]
	v_fma_f64 v[54:55], s[24:25], v[30:31], v[52:53]
	v_fma_f64 v[52:53], v[28:29], s[28:29], -v[42:43]
	v_add_f64 v[48:49], v[52:53], v[48:49]
	v_mul_f64 v[52:53], v[20:21], s[38:39]
	v_fmac_f64_e32 v[42:43], s[28:29], v[28:29]
	v_add_f64 v[42:43], v[42:43], v[46:47]
	v_fma_f64 v[46:47], v[30:31], s[28:29], -v[52:53]
	v_add_f64 v[44:45], v[54:55], v[44:45]
	v_fma_f64 v[54:55], s[28:29], v[30:31], v[52:53]
	v_add_f64 v[46:47], v[46:47], v[50:51]
	v_mul_f64 v[50:51], v[32:33], s[36:37]
	v_add_f64 v[54:55], v[54:55], v[56:57]
	v_fma_f64 v[52:53], v[28:29], s[6:7], -v[50:51]
	v_mul_f64 v[56:57], v[20:21], s[36:37]
	v_add_f64 v[52:53], v[52:53], v[108:109]
	v_fma_f64 v[108:109], s[6:7], v[30:31], v[56:57]
	v_fma_f64 v[56:57], v[30:31], s[6:7], -v[56:57]
	v_mul_f64 v[20:21], v[20:21], s[34:35]
	v_add_f64 v[56:57], v[56:57], v[110:111]
	v_fma_f64 v[110:111], s[22:23], v[30:31], v[20:21]
	v_fma_f64 v[20:21], v[30:31], s[22:23], -v[20:21]
	v_fmac_f64_e32 v[50:51], s[6:7], v[28:29]
	v_mul_f64 v[32:33], v[32:33], s[34:35]
	v_add_f64 v[14:15], v[20:21], v[14:15]
	v_add_f64 v[20:21], v[16:17], v[18:19]
	v_add_f64 v[16:17], v[16:17], -v[18:19]
	v_add_f64 v[18:19], v[104:105], -v[112:113]
	v_add_f64 v[50:51], v[50:51], v[106:107]
	v_fma_f64 v[106:107], v[28:29], s[22:23], -v[32:33]
	v_fmac_f64_e32 v[32:33], s[22:23], v[28:29]
	v_mul_f64 v[30:31], v[18:19], s[18:19]
	v_add_f64 v[12:13], v[32:33], v[12:13]
	v_fma_f64 v[32:33], v[20:21], s[6:7], -v[30:31]
	v_add_f64 v[28:29], v[104:105], v[112:113]
	v_add_f64 v[24:25], v[32:33], v[24:25]
	v_mul_f64 v[32:33], v[16:17], s[18:19]
	v_fmac_f64_e32 v[30:31], s[6:7], v[20:21]
	v_add_f64 v[22:23], v[30:31], v[22:23]
	v_fma_f64 v[30:31], v[28:29], s[6:7], -v[32:33]
	v_add_f64 v[26:27], v[30:31], v[26:27]
	v_mul_f64 v[30:31], v[18:19], s[38:39]
	v_fma_f64 v[104:105], s[6:7], v[28:29], v[32:33]
	v_fma_f64 v[32:33], v[20:21], s[28:29], -v[30:31]
	v_add_f64 v[32:33], v[32:33], v[40:41]
	v_mul_f64 v[40:41], v[16:17], s[38:39]
	v_fmac_f64_e32 v[30:31], s[28:29], v[20:21]
	v_add_f64 v[30:31], v[30:31], v[34:35]
	v_fma_f64 v[34:35], v[28:29], s[28:29], -v[40:41]
	s_mov_b32 s17, 0x3fed1bb4
	v_add_f64 v[34:35], v[34:35], v[38:39]
	v_mul_f64 v[38:39], v[18:19], s[16:17]
	v_add_f64 v[36:37], v[104:105], v[36:37]
	v_fma_f64 v[104:105], s[28:29], v[28:29], v[40:41]
	v_fma_f64 v[40:41], v[20:21], s[0:1], -v[38:39]
	v_add_f64 v[40:41], v[40:41], v[48:49]
	v_mul_f64 v[48:49], v[16:17], s[16:17]
	v_fmac_f64_e32 v[38:39], s[0:1], v[20:21]
	v_add_f64 v[38:39], v[38:39], v[42:43]
	v_fma_f64 v[42:43], v[28:29], s[0:1], -v[48:49]
	v_add_f64 v[42:43], v[42:43], v[46:47]
	v_mul_f64 v[46:47], v[18:19], s[20:21]
	v_add_f64 v[44:45], v[104:105], v[44:45]
	v_fma_f64 v[104:105], s[0:1], v[28:29], v[48:49]
	v_fma_f64 v[48:49], v[20:21], s[22:23], -v[46:47]
	v_add_f64 v[48:49], v[48:49], v[52:53]
	v_mul_f64 v[52:53], v[16:17], s[20:21]
	v_fmac_f64_e32 v[46:47], s[22:23], v[20:21]
	v_mul_f64 v[18:19], v[18:19], s[26:27]
	v_add_f64 v[54:55], v[104:105], v[54:55]
	v_fma_f64 v[104:105], s[22:23], v[28:29], v[52:53]
	v_add_f64 v[46:47], v[46:47], v[50:51]
	v_fma_f64 v[50:51], v[28:29], s[22:23], -v[52:53]
	v_fma_f64 v[52:53], v[20:21], s[24:25], -v[18:19]
	v_mul_f64 v[16:17], v[16:17], s[26:27]
	v_fmac_f64_e32 v[18:19], s[24:25], v[20:21]
	v_add_f64 v[50:51], v[50:51], v[56:57]
	v_fma_f64 v[56:57], s[24:25], v[28:29], v[16:17]
	v_add_f64 v[12:13], v[18:19], v[12:13]
	v_fma_f64 v[16:17], v[28:29], s[24:25], -v[16:17]
	v_add_f64 v[18:19], v[4:5], v[6:7]
	v_add_f64 v[4:5], v[4:5], -v[6:7]
	v_add_f64 v[14:15], v[16:17], v[14:15]
	v_add_f64 v[16:17], v[8:9], v[10:11]
	v_add_f64 v[8:9], v[8:9], -v[10:11]
	v_mul_f64 v[6:7], v[4:5], s[26:27]
	v_fma_f64 v[10:11], v[16:17], s[24:25], -v[6:7]
	v_mul_f64 v[20:21], v[8:9], s[26:27]
	v_fmac_f64_e32 v[6:7], s[24:25], v[16:17]
	v_add_f64 v[10:11], v[10:11], v[24:25]
	v_fma_f64 v[24:25], s[24:25], v[18:19], v[20:21]
	v_add_f64 v[6:7], v[6:7], v[22:23]
	v_fma_f64 v[20:21], v[18:19], s[24:25], -v[20:21]
	v_mul_f64 v[22:23], v[4:5], s[36:37]
	v_add_f64 v[20:21], v[20:21], v[26:27]
	v_fma_f64 v[26:27], v[16:17], s[6:7], -v[22:23]
	v_mul_f64 v[28:29], v[8:9], s[36:37]
	v_fmac_f64_e32 v[22:23], s[6:7], v[16:17]
	v_add_f64 v[26:27], v[26:27], v[32:33]
	v_fma_f64 v[32:33], s[6:7], v[18:19], v[28:29]
	v_add_f64 v[22:23], v[22:23], v[30:31]
	v_fma_f64 v[28:29], v[18:19], s[6:7], -v[28:29]
	v_mul_f64 v[30:31], v[4:5], s[20:21]
	v_add_f64 v[24:25], v[24:25], v[36:37]
	v_add_f64 v[28:29], v[28:29], v[34:35]
	v_fma_f64 v[34:35], v[16:17], s[22:23], -v[30:31]
	v_mul_f64 v[36:37], v[8:9], s[20:21]
	v_fmac_f64_e32 v[30:31], s[22:23], v[16:17]
	v_add_f64 v[34:35], v[34:35], v[40:41]
	v_fma_f64 v[40:41], s[22:23], v[18:19], v[36:37]
	v_add_f64 v[30:31], v[30:31], v[38:39]
	v_fma_f64 v[36:37], v[18:19], s[22:23], -v[36:37]
	v_mul_f64 v[38:39], v[4:5], s[30:31]
	v_add_f64 v[36:37], v[36:37], v[42:43]
	v_fma_f64 v[42:43], v[16:17], s[28:29], -v[38:39]
	v_fmac_f64_e32 v[38:39], s[28:29], v[16:17]
	v_mul_f64 v[4:5], v[4:5], s[16:17]
	v_add_f64 v[38:39], v[38:39], v[46:47]
	v_fma_f64 v[46:47], v[16:17], s[0:1], -v[4:5]
	v_fmac_f64_e32 v[4:5], s[0:1], v[16:17]
	v_add_f64 v[32:33], v[32:33], v[44:45]
	v_mul_f64 v[44:45], v[8:9], s[30:31]
	v_add_f64 v[4:5], v[4:5], v[12:13]
	v_add_f64 v[12:13], v[0:1], v[2:3]
	v_add_f64 v[0:1], v[0:1], -v[2:3]
	v_add_f64 v[2:3], v[100:101], -v[102:103]
	v_add_f64 v[42:43], v[42:43], v[48:49]
	v_fma_f64 v[48:49], s[28:29], v[18:19], v[44:45]
	v_fma_f64 v[44:45], v[18:19], s[28:29], -v[44:45]
	v_mul_f64 v[8:9], v[8:9], s[16:17]
	v_mul_f64 v[16:17], v[2:3], s[30:31]
	v_add_f64 v[44:45], v[44:45], v[50:51]
	v_fma_f64 v[50:51], s[0:1], v[18:19], v[8:9]
	v_fma_f64 v[8:9], v[18:19], s[0:1], -v[8:9]
	v_fma_f64 v[18:19], v[12:13], s[28:29], -v[16:17]
	v_add_f64 v[8:9], v[8:9], v[14:15]
	v_add_f64 v[14:15], v[100:101], v[102:103]
	;; [unrolled: 1-line block ×3, first 2 shown]
	v_mul_f64 v[10:11], v[0:1], s[30:31]
	v_fmac_f64_e32 v[16:17], s[28:29], v[12:13]
	v_add_f64 v[116:117], v[16:17], v[6:7]
	v_fma_f64 v[6:7], v[14:15], s[28:29], -v[10:11]
	v_add_f64 v[108:109], v[108:109], v[114:115]
	v_add_f64 v[106:107], v[106:107], v[118:119]
	;; [unrolled: 1-line block ×3, first 2 shown]
	v_mul_f64 v[6:7], v[2:3], s[34:35]
	v_add_f64 v[104:105], v[104:105], v[108:109]
	v_fma_f64 v[18:19], s[28:29], v[14:15], v[10:11]
	v_fma_f64 v[10:11], v[12:13], s[22:23], -v[6:7]
	v_add_f64 v[48:49], v[48:49], v[104:105]
	v_add_f64 v[104:105], v[10:11], v[26:27]
	v_mul_f64 v[10:11], v[0:1], s[34:35]
	v_fmac_f64_e32 v[6:7], s[22:23], v[12:13]
	v_accvgpr_write_b32 a14, v122
	v_add_f64 v[110:111], v[110:111], v[120:121]
	v_add_f64 v[120:121], v[6:7], v[22:23]
	v_fma_f64 v[6:7], v[14:15], s[22:23], -v[10:11]
	v_accvgpr_write_b32 a15, v123
	v_accvgpr_write_b32 a16, v124
	;; [unrolled: 1-line block ×3, first 2 shown]
	v_add_f64 v[122:123], v[6:7], v[28:29]
	v_mul_f64 v[6:7], v[2:3], s[26:27]
	v_fma_f64 v[16:17], s[22:23], v[14:15], v[10:11]
	v_fma_f64 v[10:11], v[12:13], s[24:25], -v[6:7]
	v_accvgpr_write_b32 a18, v126
	v_add_f64 v[108:109], v[10:11], v[34:35]
	v_mul_f64 v[10:11], v[0:1], s[26:27]
	v_fmac_f64_e32 v[6:7], s[24:25], v[12:13]
	v_accvgpr_write_b32 a19, v127
	v_accvgpr_write_b32 a20, v128
	;; [unrolled: 1-line block ×4, first 2 shown]
	v_add_f64 v[128:129], v[6:7], v[30:31]
	v_fma_f64 v[6:7], v[14:15], s[24:25], -v[10:11]
	v_accvgpr_write_b32 a23, v131
	v_accvgpr_write_b32 a24, v132
	;; [unrolled: 1-line block ×3, first 2 shown]
	v_add_f64 v[130:131], v[6:7], v[36:37]
	v_mul_f64 v[6:7], v[2:3], s[16:17]
	v_add_f64 v[52:53], v[52:53], v[106:107]
	v_add_f64 v[106:107], v[16:17], v[32:33]
	v_fma_f64 v[16:17], s[24:25], v[14:15], v[10:11]
	v_fma_f64 v[10:11], v[12:13], s[0:1], -v[6:7]
	v_add_f64 v[112:113], v[10:11], v[42:43]
	v_mul_f64 v[10:11], v[0:1], s[16:17]
	v_fmac_f64_e32 v[6:7], s[0:1], v[12:13]
	v_accvgpr_write_b32 a60, v134
	v_add_f64 v[132:133], v[6:7], v[38:39]
	v_fma_f64 v[6:7], v[14:15], s[0:1], -v[10:11]
	v_mul_f64 v[2:3], v[2:3], s[18:19]
	v_accvgpr_write_b32 a61, v135
	v_accvgpr_write_b32 a62, v136
	;; [unrolled: 1-line block ×3, first 2 shown]
	v_add_f64 v[46:47], v[46:47], v[52:53]
	v_add_f64 v[134:135], v[6:7], v[44:45]
	v_fma_f64 v[6:7], v[12:13], s[6:7], -v[2:3]
	v_mul_f64 v[0:1], v[0:1], s[18:19]
	v_accvgpr_write_b32 a64, v138
	v_add_f64 v[56:57], v[56:57], v[110:111]
	v_add_f64 v[40:41], v[40:41], v[54:55]
	;; [unrolled: 1-line block ×3, first 2 shown]
	v_fma_f64 v[6:7], s[6:7], v[14:15], v[0:1]
	v_fma_f64 v[0:1], v[14:15], s[6:7], -v[0:1]
	v_accvgpr_write_b32 a10, v76
	v_accvgpr_write_b32 a6, v72
	;; [unrolled: 1-line block ×5, first 2 shown]
	v_add_f64 v[50:51], v[50:51], v[56:57]
	v_add_f64 v[110:111], v[16:17], v[40:41]
	v_fma_f64 v[16:17], s[0:1], v[14:15], v[10:11]
	v_fmac_f64_e32 v[2:3], s[6:7], v[12:13]
	v_add_f64 v[138:139], v[0:1], v[8:9]
	v_accvgpr_read_b32 v0, a1
	v_accvgpr_write_b32 a11, v77
	v_accvgpr_write_b32 a12, v78
	;; [unrolled: 1-line block ×6, first 2 shown]
	v_add_f64 v[102:103], v[18:19], v[24:25]
	v_add_f64 v[114:115], v[16:17], v[48:49]
	;; [unrolled: 1-line block ×4, first 2 shown]
	v_lshl_add_u32 v58, v58, 4, v0
	ds_write_b128 v58, v[96:99]
	ds_write_b128 v58, v[100:103] offset:816
	ds_write_b128 v58, v[104:107] offset:1632
	;; [unrolled: 1-line block ×10, first 2 shown]
	s_waitcnt lgkmcnt(0)
	s_barrier
	s_and_saveexec_b64 s[0:1], s[4:5]
	s_cbranch_execz .LBB0_13
; %bb.12:
	v_accvgpr_read_b32 v0, a0
	v_mov_b32_e32 v1, 0
	v_lshl_add_u64 v[140:141], s[12:13], 0, v[0:1]
	v_add_co_u32_e32 v4, vcc, 0x2000, v140
	ds_read_b128 v[0:3], v58
	s_nop 0
	v_addc_co_u32_e32 v5, vcc, 0, v141, vcc
	global_load_dwordx4 v[4:7], v[4:5], off offset:784
	s_mov_b64 s[6:7], 0x2310
	v_lshl_add_u64 v[142:143], v[140:141], 0, s[6:7]
	s_movk_i32 s6, 0x3000
	s_waitcnt vmcnt(0) lgkmcnt(0)
	v_mul_f64 v[8:9], v[2:3], v[6:7]
	v_mul_f64 v[10:11], v[0:1], v[6:7]
	v_fma_f64 v[8:9], v[0:1], v[4:5], -v[8:9]
	v_fmac_f64_e32 v[10:11], v[2:3], v[4:5]
	global_load_dwordx4 v[4:7], v[142:143], off offset:528
	ds_read_b128 v[0:3], v58 offset:528
	ds_write_b128 v58, v[8:11]
	s_waitcnt vmcnt(0) lgkmcnt(1)
	v_mul_f64 v[8:9], v[2:3], v[6:7]
	v_mul_f64 v[10:11], v[0:1], v[6:7]
	v_fma_f64 v[8:9], v[0:1], v[4:5], -v[8:9]
	v_fmac_f64_e32 v[10:11], v[2:3], v[4:5]
	global_load_dwordx4 v[4:7], v[142:143], off offset:1056
	ds_read_b128 v[0:3], v58 offset:1056
	ds_write_b128 v58, v[8:11] offset:528
	s_waitcnt vmcnt(0) lgkmcnt(1)
	v_mul_f64 v[8:9], v[2:3], v[6:7]
	v_mul_f64 v[10:11], v[0:1], v[6:7]
	v_fma_f64 v[8:9], v[0:1], v[4:5], -v[8:9]
	v_fmac_f64_e32 v[10:11], v[2:3], v[4:5]
	global_load_dwordx4 v[4:7], v[142:143], off offset:1584
	ds_read_b128 v[0:3], v58 offset:1584
	ds_write_b128 v58, v[8:11] offset:1056
	;; [unrolled: 8-line block ×6, first 2 shown]
	s_waitcnt vmcnt(0) lgkmcnt(1)
	v_mul_f64 v[8:9], v[2:3], v[6:7]
	v_fma_f64 v[8:9], v[0:1], v[4:5], -v[8:9]
	v_mul_f64 v[10:11], v[0:1], v[6:7]
	v_add_co_u32_e32 v0, vcc, s6, v140
	v_fmac_f64_e32 v[10:11], v[2:3], v[4:5]
	s_nop 0
	v_addc_co_u32_e32 v1, vcc, 0, v141, vcc
	ds_write_b128 v58, v[8:11] offset:3696
	global_load_dwordx4 v[6:9], v[0:1], off offset:912
	ds_read_b128 v[2:5], v58 offset:4224
	s_movk_i32 s6, 0x4000
	s_waitcnt vmcnt(0) lgkmcnt(0)
	v_mul_f64 v[10:11], v[4:5], v[8:9]
	v_mul_f64 v[12:13], v[2:3], v[8:9]
	v_fma_f64 v[10:11], v[2:3], v[6:7], -v[10:11]
	v_fmac_f64_e32 v[12:13], v[4:5], v[6:7]
	global_load_dwordx4 v[6:9], v[0:1], off offset:1440
	ds_read_b128 v[2:5], v58 offset:4752
	ds_write_b128 v58, v[10:13] offset:4224
	s_waitcnt vmcnt(0) lgkmcnt(1)
	v_mul_f64 v[10:11], v[4:5], v[8:9]
	v_mul_f64 v[12:13], v[2:3], v[8:9]
	v_fma_f64 v[10:11], v[2:3], v[6:7], -v[10:11]
	v_fmac_f64_e32 v[12:13], v[4:5], v[6:7]
	global_load_dwordx4 v[6:9], v[0:1], off offset:1968
	ds_read_b128 v[2:5], v58 offset:5280
	ds_write_b128 v58, v[10:13] offset:4752
	s_waitcnt vmcnt(0) lgkmcnt(1)
	v_mul_f64 v[10:11], v[4:5], v[8:9]
	v_mul_f64 v[12:13], v[2:3], v[8:9]
	v_fma_f64 v[10:11], v[2:3], v[6:7], -v[10:11]
	v_fmac_f64_e32 v[12:13], v[4:5], v[6:7]
	global_load_dwordx4 v[6:9], v[0:1], off offset:2496
	ds_read_b128 v[2:5], v58 offset:5808
	ds_write_b128 v58, v[10:13] offset:5280
	s_waitcnt vmcnt(0) lgkmcnt(1)
	v_mul_f64 v[10:11], v[4:5], v[8:9]
	v_mul_f64 v[12:13], v[2:3], v[8:9]
	v_fma_f64 v[10:11], v[2:3], v[6:7], -v[10:11]
	v_fmac_f64_e32 v[12:13], v[4:5], v[6:7]
	global_load_dwordx4 v[6:9], v[0:1], off offset:3024
	ds_read_b128 v[2:5], v58 offset:6336
	ds_write_b128 v58, v[10:13] offset:5808
	s_waitcnt vmcnt(0) lgkmcnt(1)
	v_mul_f64 v[10:11], v[4:5], v[8:9]
	v_mul_f64 v[12:13], v[2:3], v[8:9]
	v_fma_f64 v[10:11], v[2:3], v[6:7], -v[10:11]
	v_fmac_f64_e32 v[12:13], v[4:5], v[6:7]
	global_load_dwordx4 v[6:9], v[0:1], off offset:3552
	ds_read_b128 v[2:5], v58 offset:6864
	ds_write_b128 v58, v[10:13] offset:6336
	s_waitcnt vmcnt(0) lgkmcnt(1)
	v_mul_f64 v[10:11], v[4:5], v[8:9]
	v_mul_f64 v[12:13], v[2:3], v[8:9]
	v_fma_f64 v[10:11], v[2:3], v[6:7], -v[10:11]
	v_fmac_f64_e32 v[12:13], v[4:5], v[6:7]
	global_load_dwordx4 v[6:9], v[0:1], off offset:4080
	ds_read_b128 v[2:5], v58 offset:7392
	ds_write_b128 v58, v[10:13] offset:6864
	v_add_co_u32_e32 v12, vcc, s6, v140
	s_nop 1
	v_addc_co_u32_e32 v13, vcc, 0, v141, vcc
	ds_read_b128 v[140:143], v58 offset:8448
	global_load_dwordx4 v[144:147], v[12:13], off offset:1040
	s_waitcnt vmcnt(1) lgkmcnt(2)
	v_mul_f64 v[0:1], v[4:5], v[8:9]
	v_fma_f64 v[0:1], v[2:3], v[6:7], -v[0:1]
	v_mul_f64 v[2:3], v[2:3], v[8:9]
	v_fmac_f64_e32 v[2:3], v[4:5], v[6:7]
	global_load_dwordx4 v[4:7], v[12:13], off offset:512
	ds_write_b128 v58, v[0:3] offset:7392
	ds_read_b128 v[0:3], v58 offset:7920
	s_waitcnt vmcnt(0) lgkmcnt(0)
	v_mul_f64 v[8:9], v[2:3], v[6:7]
	v_mul_f64 v[10:11], v[0:1], v[6:7]
	v_fma_f64 v[8:9], v[0:1], v[4:5], -v[8:9]
	v_fmac_f64_e32 v[10:11], v[2:3], v[4:5]
	v_mul_f64 v[0:1], v[142:143], v[146:147]
	v_mul_f64 v[2:3], v[140:141], v[146:147]
	v_fma_f64 v[0:1], v[140:141], v[144:145], -v[0:1]
	v_fmac_f64_e32 v[2:3], v[142:143], v[144:145]
	ds_write_b128 v58, v[8:11] offset:7920
	ds_write_b128 v58, v[0:3] offset:8448
.LBB0_13:
	s_or_b64 exec, exec, s[0:1]
	s_waitcnt lgkmcnt(0)
	s_barrier
	s_and_saveexec_b64 s[0:1], s[4:5]
	s_cbranch_execz .LBB0_15
; %bb.14:
	ds_read_b128 v[96:99], v58
	ds_read_b128 v[100:103], v58 offset:528
	ds_read_b128 v[104:107], v58 offset:1056
	;; [unrolled: 1-line block ×16, first 2 shown]
.LBB0_15:
	s_or_b64 exec, exec, s[0:1]
	s_mov_b32 s6, 0x910ea3b9
	s_waitcnt lgkmcnt(0)
	v_add_f64 v[200:201], v[102:103], v[150:151]
	s_mov_b32 s7, 0xbfeb34fa
	s_mov_b32 s24, 0x4363dd80
	v_add_f64 v[206:207], v[100:101], -v[148:149]
	s_mov_b32 s18, 0x6c9a05f6
	s_mov_b32 s25, 0xbfe0d888
	v_mul_f64 v[158:159], v[200:201], s[6:7]
	s_mov_b32 s16, 0x7faef3
	v_add_f64 v[202:203], v[102:103], -v[150:151]
	s_mov_b32 s0, 0x6ed5f1bb
	s_mov_b32 s19, 0xbfe9895b
	v_fma_f64 v[6:7], s[24:25], v[206:207], v[158:159]
	s_mov_b32 s17, 0xbfef7484
	s_mov_b32 s28, 0xacd6c6b4
	s_mov_b32 s42, 0x923c349f
	v_add_f64 v[198:199], v[100:101], v[148:149]
	s_mov_b32 s1, 0xbfe348c8
	v_mul_f64 v[56:57], v[202:203], s[18:19]
	v_add_f64 v[8:9], v[98:99], v[6:7]
	s_mov_b32 s29, 0xbfc7851a
	v_mul_f64 v[6:7], v[200:201], s[16:17]
	v_add_f64 v[210:211], v[106:107], -v[66:67]
	s_mov_b32 s20, 0xc61f0d01
	s_mov_b32 s43, 0x3feec746
	v_mul_f64 v[162:163], v[200:201], s[0:1]
	v_fma_f64 v[0:1], v[198:199], s[0:1], -v[56:57]
	v_fma_f64 v[12:13], s[28:29], v[206:207], v[6:7]
	v_add_f64 v[204:205], v[104:105], v[64:65]
	v_add_f64 v[208:209], v[106:107], v[66:67]
	s_mov_b32 s21, 0xbfd183b1
	v_mul_f64 v[164:165], v[210:211], s[42:43]
	s_mov_b32 s44, 0x7c9e640b
	v_add_f64 v[0:1], v[96:97], v[0:1]
	v_fma_f64 v[2:3], s[18:19], v[206:207], v[162:163]
	v_mul_f64 v[156:157], v[202:203], s[24:25]
	v_add_f64 v[14:15], v[98:99], v[12:13]
	v_add_f64 v[214:215], v[104:105], -v[64:65]
	v_mul_f64 v[166:167], v[208:209], s[20:21]
	v_fma_f64 v[12:13], v[204:205], s[20:21], -v[164:165]
	s_mov_b32 s22, 0x2b2883cd
	s_mov_b32 s45, 0x3feca52d
	v_add_f64 v[2:3], v[98:99], v[2:3]
	v_fma_f64 v[4:5], v[198:199], s[6:7], -v[156:157]
	v_add_f64 v[0:1], v[12:13], v[0:1]
	v_fma_f64 v[12:13], s[42:43], v[214:215], v[166:167]
	s_mov_b32 s23, 0x3fdc86fa
	v_mul_f64 v[170:171], v[210:211], s[44:45]
	v_add_f64 v[4:5], v[96:97], v[4:5]
	v_add_f64 v[2:3], v[12:13], v[2:3]
	v_mul_f64 v[176:177], v[208:209], s[22:23]
	v_fma_f64 v[12:13], v[204:205], s[22:23], -v[170:171]
	s_mov_b32 s46, 0x5d8e7cdc
	v_mul_f64 v[178:179], v[202:203], s[28:29]
	v_add_f64 v[4:5], v[12:13], v[4:5]
	v_fma_f64 v[12:13], s[44:45], v[214:215], v[176:177]
	s_mov_b32 s26, 0x370991
	s_mov_b32 s47, 0x3fd71e95
	v_fma_f64 v[10:11], v[198:199], s[16:17], -v[178:179]
	v_add_f64 v[16:17], v[12:13], v[8:9]
	s_mov_b32 s27, 0x3fedd6d0
	v_mul_f64 v[12:13], v[210:211], s[46:47]
	v_add_f64 v[10:11], v[96:97], v[10:11]
	v_mul_f64 v[192:193], v[208:209], s[26:27]
	v_fma_f64 v[8:9], v[204:205], s[26:27], -v[12:13]
	v_add_f64 v[220:221], v[110:111], -v[154:155]
	s_mov_b32 s37, 0xbfd71e95
	s_mov_b32 s36, s46
	v_add_f64 v[10:11], v[8:9], v[10:11]
	v_fma_f64 v[8:9], s[46:47], v[214:215], v[192:193]
	v_add_f64 v[212:213], v[108:109], v[152:153]
	v_add_f64 v[216:217], v[110:111], v[154:155]
	v_mul_f64 v[168:169], v[220:221], s[36:37]
	s_mov_b32 s40, 0xeb564b22
	v_add_f64 v[14:15], v[8:9], v[14:15]
	v_add_f64 v[224:225], v[108:109], -v[152:153]
	v_mul_f64 v[172:173], v[216:217], s[26:27]
	v_fma_f64 v[8:9], v[212:213], s[26:27], -v[168:169]
	s_mov_b32 s30, 0x3259b75e
	s_mov_b32 s41, 0xbfefdd0d
	v_add_f64 v[0:1], v[8:9], v[0:1]
	v_fma_f64 v[8:9], s[36:37], v[224:225], v[172:173]
	s_mov_b32 s31, 0x3fb79ee6
	v_mul_f64 v[180:181], v[220:221], s[40:41]
	v_add_f64 v[2:3], v[8:9], v[2:3]
	v_mul_f64 v[8:9], v[216:217], s[30:31]
	v_fma_f64 v[18:19], v[212:213], s[30:31], -v[180:181]
	v_add_f64 v[4:5], v[18:19], v[4:5]
	v_fma_f64 v[18:19], s[40:41], v[224:225], v[8:9]
	v_mul_f64 v[190:191], v[220:221], s[24:25]
	v_add_f64 v[16:17], v[18:19], v[16:17]
	v_mul_f64 v[28:29], v[216:217], s[6:7]
	v_fma_f64 v[18:19], v[212:213], s[6:7], -v[190:191]
	v_add_f64 v[228:229], v[114:115], -v[62:63]
	v_add_f64 v[10:11], v[18:19], v[10:11]
	v_fma_f64 v[18:19], s[24:25], v[224:225], v[28:29]
	v_add_f64 v[218:219], v[112:113], v[60:61]
	v_add_f64 v[222:223], v[114:115], v[62:63]
	v_mul_f64 v[174:175], v[228:229], s[24:25]
	v_add_f64 v[14:15], v[18:19], v[14:15]
	v_add_f64 v[234:235], v[112:113], -v[60:61]
	v_mul_f64 v[182:183], v[222:223], s[6:7]
	v_fma_f64 v[18:19], v[218:219], s[6:7], -v[174:175]
	v_add_f64 v[20:21], v[18:19], v[0:1]
	v_fma_f64 v[0:1], s[24:25], v[234:235], v[182:183]
	s_mov_b32 s55, 0x3fe9895b
	s_mov_b32 s54, s18
	v_add_f64 v[22:23], v[0:1], v[2:3]
	v_mul_f64 v[2:3], v[228:229], s[54:55]
	s_mov_b32 s52, 0x2a9d6da3
	v_mul_f64 v[18:19], v[222:223], s[0:1]
	v_fma_f64 v[0:1], v[218:219], s[0:1], -v[2:3]
	s_mov_b32 s38, 0x75d4884
	s_mov_b32 s53, 0x3fe58eea
	v_add_f64 v[24:25], v[0:1], v[4:5]
	v_fma_f64 v[0:1], s[54:55], v[234:235], v[18:19]
	s_mov_b32 s39, 0x3fe7a5f6
	v_mul_f64 v[26:27], v[228:229], s[52:53]
	v_add_f64 v[16:17], v[0:1], v[16:17]
	v_mul_f64 v[38:39], v[222:223], s[38:39]
	v_fma_f64 v[0:1], v[218:219], s[38:39], -v[26:27]
	v_add_f64 v[10:11], v[0:1], v[10:11]
	v_fma_f64 v[0:1], s[52:53], v[234:235], v[38:39]
	v_add_f64 v[236:237], v[126:127], -v[70:71]
	s_mov_b32 s59, 0x3fefdd0d
	s_mov_b32 s58, s40
	v_add_f64 v[30:31], v[0:1], v[14:15]
	v_add_f64 v[226:227], v[124:125], v[68:69]
	;; [unrolled: 1-line block ×3, first 2 shown]
	v_mul_f64 v[0:1], v[236:237], s[58:59]
	v_add_f64 v[242:243], v[124:125], -v[68:69]
	v_mul_f64 v[4:5], v[230:231], s[30:31]
	v_fma_f64 v[14:15], v[226:227], s[30:31], -v[0:1]
	v_add_f64 v[32:33], v[14:15], v[20:21]
	v_fma_f64 v[14:15], s[58:59], v[242:243], v[4:5]
	v_add_f64 v[22:23], v[14:15], v[22:23]
	v_mul_f64 v[14:15], v[236:237], s[36:37]
	v_mul_f64 v[20:21], v[230:231], s[26:27]
	v_fma_f64 v[34:35], v[226:227], s[26:27], -v[14:15]
	v_add_f64 v[24:25], v[34:35], v[24:25]
	v_fma_f64 v[34:35], s[36:37], v[242:243], v[20:21]
	v_add_f64 v[36:37], v[34:35], v[16:17]
	v_mul_f64 v[34:35], v[236:237], s[18:19]
	v_mul_f64 v[44:45], v[230:231], s[0:1]
	v_fma_f64 v[16:17], v[226:227], s[0:1], -v[34:35]
	v_add_f64 v[42:43], v[16:17], v[10:11]
	v_fma_f64 v[10:11], s[18:19], v[242:243], v[44:45]
	v_add_f64 v[244:245], v[138:139], -v[94:95]
	s_mov_b32 s49, 0xbfe58eea
	s_mov_b32 s48, s52
	v_add_f64 v[46:47], v[10:11], v[30:31]
	v_add_f64 v[232:233], v[136:137], v[92:93]
	;; [unrolled: 1-line block ×3, first 2 shown]
	v_mul_f64 v[10:11], v[244:245], s[48:49]
	v_add_f64 v[250:251], v[136:137], -v[92:93]
	v_mul_f64 v[16:17], v[238:239], s[38:39]
	v_fma_f64 v[30:31], v[232:233], s[38:39], -v[10:11]
	v_add_f64 v[32:33], v[30:31], v[32:33]
	v_fma_f64 v[30:31], s[48:49], v[250:251], v[16:17]
	v_mul_f64 v[188:189], v[244:245], s[28:29]
	v_add_f64 v[22:23], v[30:31], v[22:23]
	v_mul_f64 v[30:31], v[238:239], s[16:17]
	v_fma_f64 v[40:41], v[232:233], s[16:17], -v[188:189]
	v_add_f64 v[24:25], v[40:41], v[24:25]
	v_fma_f64 v[40:41], s[28:29], v[250:251], v[30:31]
	v_add_f64 v[50:51], v[40:41], v[36:37]
	v_mul_f64 v[40:41], v[244:245], s[44:45]
	v_mul_f64 v[48:49], v[238:239], s[22:23]
	v_fma_f64 v[36:37], v[232:233], s[22:23], -v[40:41]
	v_add_f64 v[254:255], v[134:135], -v[118:119]
	v_add_f64 v[42:43], v[36:37], v[42:43]
	v_fma_f64 v[36:37], s[44:45], v[250:251], v[48:49]
	v_add_f64 v[240:241], v[132:133], v[116:117]
	v_add_f64 v[246:247], v[134:135], v[118:119]
	v_mul_f64 v[184:185], v[254:255], s[28:29]
	v_add_f64 v[54:55], v[36:37], v[46:47]
	v_add_f64 v[196:197], v[132:133], -v[116:117]
	v_mul_f64 v[186:187], v[246:247], s[16:17]
	v_fma_f64 v[36:37], v[240:241], s[16:17], -v[184:185]
	v_add_f64 v[32:33], v[36:37], v[32:33]
	v_fma_f64 v[36:37], s[28:29], v[196:197], v[186:187]
	v_add_f64 v[140:141], v[36:37], v[22:23]
	v_mul_f64 v[22:23], v[254:255], s[52:53]
	v_mul_f64 v[36:37], v[246:247], s[38:39]
	v_fma_f64 v[46:47], v[240:241], s[38:39], -v[22:23]
	s_mov_b32 s51, 0xbfeec746
	s_mov_b32 s50, s42
	v_add_f64 v[142:143], v[46:47], v[24:25]
	v_fma_f64 v[24:25], s[52:53], v[196:197], v[36:37]
	v_mul_f64 v[46:47], v[254:255], s[50:51]
	v_mov_b64_e32 v[72:73], v[152:153]
	v_accvgpr_write_b32 a71, v63
	v_mov_b64_e32 v[78:79], v[70:71]
	v_add_f64 v[50:51], v[24:25], v[50:51]
	v_mul_f64 v[52:53], v[246:247], s[20:21]
	v_fma_f64 v[24:25], v[240:241], s[20:21], -v[46:47]
	v_mov_b64_e32 v[74:75], v[154:155]
	v_add_f64 v[152:153], v[130:131], -v[122:123]
	v_accvgpr_write_b32 a70, v62
	v_accvgpr_write_b32 a69, v61
	;; [unrolled: 1-line block ×3, first 2 shown]
	v_mov_b64_e32 v[76:77], v[68:69]
	v_add_f64 v[60:61], v[24:25], v[42:43]
	v_fma_f64 v[24:25], s[50:51], v[196:197], v[52:53]
	v_add_f64 v[248:249], v[128:129], v[120:121]
	v_add_f64 v[252:253], v[130:131], v[122:123]
	v_mov_b64_e32 v[70:71], v[66:67]
	v_mul_f64 v[194:195], v[152:153], s[44:45]
	v_add_f64 v[62:63], v[24:25], v[54:55]
	v_mov_b64_e32 v[68:69], v[64:65]
	v_add_f64 v[154:155], v[128:129], -v[120:121]
	v_mul_f64 v[24:25], v[252:253], s[22:23]
	v_fma_f64 v[42:43], v[248:249], s[22:23], -v[194:195]
	v_mov_b64_e32 v[64:65], v[148:149]
	v_mov_b64_e32 v[66:67], v[150:151]
	v_add_f64 v[148:149], v[42:43], v[32:33]
	v_fma_f64 v[32:33], s[44:45], v[154:155], v[24:25]
	v_add_f64 v[150:151], v[32:33], v[140:141]
	v_mul_f64 v[32:33], v[152:153], s[50:51]
	v_mul_f64 v[42:43], v[252:253], s[20:21]
	v_fma_f64 v[54:55], v[248:249], s[20:21], -v[32:33]
	v_add_f64 v[144:145], v[54:55], v[142:143]
	v_fma_f64 v[54:55], s[50:51], v[154:155], v[42:43]
	v_add_f64 v[146:147], v[54:55], v[50:51]
	v_mul_f64 v[50:51], v[152:153], s[58:59]
	v_mul_f64 v[54:55], v[252:253], s[30:31]
	v_fma_f64 v[140:141], v[248:249], s[30:31], -v[50:51]
	v_add_f64 v[140:141], v[140:141], v[60:61]
	v_fma_f64 v[60:61], s[58:59], v[154:155], v[54:55]
	v_add_f64 v[142:143], v[60:61], v[62:63]
	s_barrier
	s_and_saveexec_b64 s[34:35], s[4:5]
	s_cbranch_execz .LBB0_17
; %bb.16:
	v_mul_f64 v[60:61], v[154:155], s[58:59]
	v_add_f64 v[54:55], v[54:55], -v[60:61]
	v_mul_f64 v[60:61], v[196:197], s[50:51]
	v_add_f64 v[52:53], v[52:53], -v[60:61]
	;; [unrolled: 2-line block ×5, first 2 shown]
	v_mul_f64 v[60:61], v[224:225], s[24:25]
	v_mul_f64 v[62:63], v[206:207], s[28:29]
	v_add_f64 v[28:29], v[28:29], -v[60:61]
	v_mul_f64 v[60:61], v[214:215], s[46:47]
	v_add_f64 v[6:7], v[6:7], -v[62:63]
	v_add_f64 v[60:61], v[192:193], -v[60:61]
	v_add_f64 v[6:7], v[98:99], v[6:7]
	v_add_f64 v[6:7], v[60:61], v[6:7]
	;; [unrolled: 1-line block ×7, first 2 shown]
	v_mul_f64 v[52:53], v[248:249], s[30:31]
	v_add_f64 v[50:51], v[52:53], v[50:51]
	v_mul_f64 v[52:53], v[240:241], s[20:21]
	v_add_f64 v[46:47], v[52:53], v[46:47]
	v_mul_f64 v[52:53], v[232:233], s[22:23]
	v_add_f64 v[40:41], v[52:53], v[40:41]
	v_mul_f64 v[52:53], v[226:227], s[0:1]
	v_add_f64 v[34:35], v[52:53], v[34:35]
	v_mul_f64 v[52:53], v[218:219], s[38:39]
	v_mul_f64 v[44:45], v[198:199], s[16:17]
	v_add_f64 v[26:27], v[52:53], v[26:27]
	v_mul_f64 v[52:53], v[212:213], s[6:7]
	v_add_f64 v[52:53], v[52:53], v[190:191]
	;; [unrolled: 2-line block ×3, first 2 shown]
	v_add_f64 v[12:13], v[190:191], v[12:13]
	v_add_f64 v[44:45], v[96:97], v[44:45]
	;; [unrolled: 1-line block ×8, first 2 shown]
	v_accvgpr_write_b32 a76, v80
	v_accvgpr_write_b32 a77, v81
	;; [unrolled: 1-line block ×4, first 2 shown]
	v_add_f64 v[80:81], v[50:51], v[12:13]
	v_mul_f64 v[12:13], v[154:155], s[50:51]
	v_mul_f64 v[38:39], v[206:207], s[24:25]
	v_add_f64 v[12:13], v[42:43], -v[12:13]
	v_mul_f64 v[42:43], v[196:197], s[52:53]
	v_mul_f64 v[44:45], v[214:215], s[44:45]
	v_add_f64 v[36:37], v[36:37], -v[42:43]
	v_mul_f64 v[42:43], v[250:251], s[28:29]
	v_add_f64 v[38:39], v[158:159], -v[38:39]
	;; [unrolled: 2-line block ×4, first 2 shown]
	v_add_f64 v[38:39], v[98:99], v[38:39]
	v_add_f64 v[20:21], v[20:21], -v[42:43]
	v_mul_f64 v[42:43], v[234:235], s[54:55]
	v_add_f64 v[8:9], v[8:9], -v[40:41]
	v_add_f64 v[38:39], v[44:45], v[38:39]
	v_add_f64 v[18:19], v[18:19], -v[42:43]
	v_add_f64 v[8:9], v[8:9], v[38:39]
	v_add_f64 v[8:9], v[18:19], v[8:9]
	;; [unrolled: 1-line block ×3, first 2 shown]
	v_mul_f64 v[28:29], v[198:199], s[6:7]
	v_add_f64 v[8:9], v[30:31], v[8:9]
	v_mul_f64 v[178:179], v[204:205], s[22:23]
	v_add_f64 v[82:83], v[54:55], v[6:7]
	;; [unrolled: 2-line block ×3, first 2 shown]
	v_add_f64 v[28:29], v[28:29], v[156:157]
	v_mul_f64 v[34:35], v[212:213], s[30:31]
	v_add_f64 v[158:159], v[12:13], v[8:9]
	v_add_f64 v[8:9], v[54:55], v[14:15]
	;; [unrolled: 1-line block ×4, first 2 shown]
	v_mul_f64 v[42:43], v[218:219], s[0:1]
	v_add_f64 v[12:13], v[34:35], v[180:181]
	v_add_f64 v[14:15], v[14:15], v[28:29]
	;; [unrolled: 1-line block ×4, first 2 shown]
	v_mul_f64 v[18:19], v[232:233], s[16:17]
	v_add_f64 v[2:3], v[2:3], v[12:13]
	v_mul_f64 v[60:61], v[206:207], s[18:19]
	v_add_f64 v[18:19], v[18:19], v[188:189]
	v_add_f64 v[2:3], v[8:9], v[2:3]
	v_mul_f64 v[190:191], v[214:215], s[42:43]
	v_mul_f64 v[38:39], v[250:251], s[48:49]
	v_add_f64 v[2:3], v[18:19], v[2:3]
	v_add_f64 v[18:19], v[162:163], -v[60:61]
	v_mul_f64 v[26:27], v[224:225], s[36:37]
	v_mul_f64 v[36:37], v[248:249], s[20:21]
	v_add_f64 v[12:13], v[16:17], -v[38:39]
	v_add_f64 v[16:17], v[166:167], -v[190:191]
	v_add_f64 v[18:19], v[98:99], v[18:19]
	v_mul_f64 v[6:7], v[234:235], s[24:25]
	v_add_f64 v[32:33], v[36:37], v[32:33]
	v_mul_f64 v[36:37], v[240:241], s[38:39]
	v_add_f64 v[14:15], v[172:173], -v[26:27]
	v_add_f64 v[16:17], v[16:17], v[18:19]
	v_mul_f64 v[62:63], v[198:199], s[0:1]
	v_mul_f64 v[50:51], v[242:243], s[58:59]
	v_add_f64 v[22:23], v[36:37], v[22:23]
	v_add_f64 v[6:7], v[182:183], -v[6:7]
	v_add_f64 v[14:15], v[14:15], v[16:17]
	v_mul_f64 v[48:49], v[204:205], s[20:21]
	v_add_f64 v[2:3], v[22:23], v[2:3]
	v_add_f64 v[4:5], v[4:5], -v[50:51]
	v_add_f64 v[6:7], v[6:7], v[14:15]
	v_add_f64 v[16:17], v[62:63], v[56:57]
	v_mul_f64 v[52:53], v[212:213], s[26:27]
	v_mul_f64 v[30:31], v[196:197], s[28:29]
	v_add_f64 v[156:157], v[32:33], v[2:3]
	v_add_f64 v[4:5], v[4:5], v[6:7]
	;; [unrolled: 1-line block ×4, first 2 shown]
	s_mov_b32 s61, 0x3fe0d888
	s_mov_b32 s60, s24
	v_mul_f64 v[32:33], v[206:207], s[50:51]
	v_mul_f64 v[46:47], v[218:219], s[6:7]
	;; [unrolled: 1-line block ×4, first 2 shown]
	v_add_f64 v[8:9], v[186:187], -v[30:31]
	v_add_f64 v[4:5], v[12:13], v[4:5]
	v_add_f64 v[12:13], v[52:53], v[168:169]
	;; [unrolled: 1-line block ×3, first 2 shown]
	v_mul_f64 v[28:29], v[214:215], s[60:61]
	v_fma_f64 v[34:35], s[20:21], v[200:201], v[32:33]
	v_mul_f64 v[40:41], v[226:227], s[30:31]
	v_mul_f64 v[20:21], v[240:241], s[16:17]
	v_add_f64 v[2:3], v[24:25], -v[176:177]
	v_add_f64 v[4:5], v[8:9], v[4:5]
	v_add_f64 v[8:9], v[44:45], v[10:11]
	;; [unrolled: 1-line block ×4, first 2 shown]
	s_mov_b32 s57, 0xbfeca52d
	s_mov_b32 s56, s44
	v_mul_f64 v[24:25], v[224:225], s[52:53]
	v_fma_f64 v[30:31], s[6:7], v[208:209], v[28:29]
	v_add_f64 v[34:35], v[98:99], v[34:35]
	v_mul_f64 v[48:49], v[202:203], s[50:51]
	v_add_f64 v[6:7], v[20:21], v[184:185]
	v_add_f64 v[0:1], v[40:41], v[0:1]
	;; [unrolled: 1-line block ×3, first 2 shown]
	v_mul_f64 v[20:21], v[234:235], s[56:57]
	v_fma_f64 v[26:27], s[38:39], v[216:217], v[24:25]
	v_add_f64 v[30:31], v[30:31], v[34:35]
	v_mul_f64 v[44:45], v[210:211], s[60:61]
	v_fma_f64 v[50:51], v[198:199], s[20:21], -v[48:49]
	v_mul_f64 v[36:37], v[248:249], s[22:23]
	v_add_f64 v[0:1], v[0:1], v[10:11]
	v_mul_f64 v[16:17], v[242:243], s[28:29]
	v_fma_f64 v[22:23], s[22:23], v[222:223], v[20:21]
	v_add_f64 v[26:27], v[26:27], v[30:31]
	v_mul_f64 v[40:41], v[220:221], s[52:53]
	v_fma_f64 v[46:47], v[204:205], s[6:7], -v[44:45]
	v_add_f64 v[50:51], v[96:97], v[50:51]
	v_add_f64 v[2:3], v[2:3], v[4:5]
	;; [unrolled: 1-line block ×4, first 2 shown]
	v_mul_f64 v[12:13], v[250:251], s[58:59]
	v_fma_f64 v[18:19], s[16:17], v[230:231], v[16:17]
	v_add_f64 v[22:23], v[22:23], v[26:27]
	v_mul_f64 v[36:37], v[228:229], s[56:57]
	v_fma_f64 v[42:43], v[212:213], s[38:39], -v[40:41]
	v_add_f64 v[46:47], v[46:47], v[50:51]
	v_add_f64 v[0:1], v[6:7], v[0:1]
	v_mul_f64 v[8:9], v[196:197], s[36:37]
	v_fma_f64 v[14:15], s[30:31], v[238:239], v[12:13]
	v_add_f64 v[18:19], v[18:19], v[22:23]
	v_mul_f64 v[30:31], v[236:237], s[28:29]
	v_fma_f64 v[38:39], v[218:219], s[22:23], -v[36:37]
	v_add_f64 v[42:43], v[42:43], v[46:47]
	v_add_f64 v[0:1], v[4:5], v[0:1]
	v_mul_f64 v[4:5], v[154:155], s[18:19]
	v_fma_f64 v[10:11], s[26:27], v[246:247], v[8:9]
	v_add_f64 v[14:15], v[14:15], v[18:19]
	v_mul_f64 v[22:23], v[244:245], s[58:59]
	v_fma_f64 v[34:35], v[226:227], s[16:17], -v[30:31]
	v_add_f64 v[38:39], v[38:39], v[42:43]
	v_fma_f64 v[6:7], s[0:1], v[252:253], v[4:5]
	v_add_f64 v[10:11], v[10:11], v[14:15]
	v_mul_f64 v[14:15], v[254:255], s[36:37]
	v_fma_f64 v[26:27], v[232:233], s[30:31], -v[22:23]
	v_add_f64 v[34:35], v[34:35], v[38:39]
	v_add_f64 v[166:167], v[6:7], v[10:11]
	v_mul_f64 v[6:7], v[152:153], s[18:19]
	v_fma_f64 v[18:19], v[240:241], s[26:27], -v[14:15]
	v_add_f64 v[26:27], v[26:27], v[34:35]
	v_fma_f64 v[10:11], v[248:249], s[0:1], -v[6:7]
	v_add_f64 v[18:19], v[18:19], v[26:27]
	v_add_f64 v[164:165], v[10:11], v[18:19]
	v_fma_f64 v[18:19], v[216:217], s[38:39], -v[24:25]
	v_fma_f64 v[24:25], v[200:201], s[20:21], -v[32:33]
	v_fma_f64 v[10:11], v[238:239], s[30:31], -v[12:13]
	v_fma_f64 v[12:13], v[230:231], s[16:17], -v[16:17]
	v_fma_f64 v[16:17], v[222:223], s[22:23], -v[20:21]
	v_fma_f64 v[20:21], v[208:209], s[6:7], -v[28:29]
	v_add_f64 v[24:25], v[98:99], v[24:25]
	v_add_f64 v[20:21], v[20:21], v[24:25]
	;; [unrolled: 1-line block ×5, first 2 shown]
	v_fma_f64 v[8:9], v[246:247], s[26:27], -v[8:9]
	v_add_f64 v[10:11], v[10:11], v[12:13]
	v_fma_f64 v[4:5], v[252:253], s[0:1], -v[4:5]
	v_add_f64 v[8:9], v[8:9], v[10:11]
	v_fmac_f64_e32 v[48:49], s[20:21], v[198:199]
	v_add_f64 v[174:175], v[4:5], v[8:9]
	v_fmac_f64_e32 v[44:45], s[6:7], v[204:205]
	;; [unrolled: 2-line block ×4, first 2 shown]
	v_add_f64 v[4:5], v[40:41], v[4:5]
	v_mul_f64 v[32:33], v[206:207], s[40:41]
	v_fmac_f64_e32 v[30:31], s[16:17], v[226:227]
	v_add_f64 v[4:5], v[36:37], v[4:5]
	v_mul_f64 v[28:29], v[214:215], s[28:29]
	v_fma_f64 v[34:35], s[30:31], v[200:201], v[32:33]
	v_add_f64 v[4:5], v[30:31], v[4:5]
	v_mul_f64 v[24:25], v[224:225], s[42:43]
	v_fma_f64 v[30:31], s[16:17], v[208:209], v[28:29]
	v_add_f64 v[34:35], v[98:99], v[34:35]
	v_mul_f64 v[48:49], v[202:203], s[40:41]
	v_fmac_f64_e32 v[22:23], s[30:31], v[232:233]
	v_mul_f64 v[20:21], v[234:235], s[46:47]
	v_fma_f64 v[26:27], s[20:21], v[216:217], v[24:25]
	v_add_f64 v[30:31], v[30:31], v[34:35]
	v_mul_f64 v[44:45], v[210:211], s[28:29]
	v_fma_f64 v[50:51], v[198:199], s[30:31], -v[48:49]
	v_add_f64 v[4:5], v[22:23], v[4:5]
	v_mul_f64 v[16:17], v[242:243], s[56:57]
	v_fma_f64 v[22:23], s[26:27], v[222:223], v[20:21]
	v_add_f64 v[26:27], v[26:27], v[30:31]
	v_mul_f64 v[40:41], v[220:221], s[42:43]
	v_fma_f64 v[46:47], v[204:205], s[16:17], -v[44:45]
	v_add_f64 v[50:51], v[96:97], v[50:51]
	v_fmac_f64_e32 v[14:15], s[26:27], v[240:241]
	v_mul_f64 v[12:13], v[250:251], s[24:25]
	v_fma_f64 v[18:19], s[22:23], v[230:231], v[16:17]
	v_add_f64 v[22:23], v[22:23], v[26:27]
	v_mul_f64 v[36:37], v[228:229], s[46:47]
	v_fma_f64 v[42:43], v[212:213], s[20:21], -v[40:41]
	v_add_f64 v[46:47], v[46:47], v[50:51]
	v_fmac_f64_e32 v[6:7], s[0:1], v[248:249]
	v_add_f64 v[4:5], v[14:15], v[4:5]
	v_mul_f64 v[8:9], v[196:197], s[54:55]
	v_fma_f64 v[14:15], s[6:7], v[238:239], v[12:13]
	v_add_f64 v[18:19], v[18:19], v[22:23]
	v_mul_f64 v[30:31], v[236:237], s[56:57]
	v_fma_f64 v[38:39], v[218:219], s[26:27], -v[36:37]
	v_add_f64 v[42:43], v[42:43], v[46:47]
	v_add_f64 v[172:173], v[6:7], v[4:5]
	v_mul_f64 v[4:5], v[154:155], s[52:53]
	v_fma_f64 v[10:11], s[0:1], v[246:247], v[8:9]
	v_add_f64 v[14:15], v[14:15], v[18:19]
	v_mul_f64 v[22:23], v[244:245], s[24:25]
	v_fma_f64 v[34:35], v[226:227], s[22:23], -v[30:31]
	v_add_f64 v[38:39], v[38:39], v[42:43]
	v_fma_f64 v[6:7], s[38:39], v[252:253], v[4:5]
	v_add_f64 v[10:11], v[10:11], v[14:15]
	v_mul_f64 v[14:15], v[254:255], s[54:55]
	v_fma_f64 v[26:27], v[232:233], s[6:7], -v[22:23]
	v_add_f64 v[34:35], v[34:35], v[38:39]
	v_add_f64 v[170:171], v[6:7], v[10:11]
	v_mul_f64 v[6:7], v[152:153], s[52:53]
	v_fma_f64 v[18:19], v[240:241], s[0:1], -v[14:15]
	v_add_f64 v[26:27], v[26:27], v[34:35]
	v_fma_f64 v[10:11], v[248:249], s[38:39], -v[6:7]
	v_add_f64 v[18:19], v[18:19], v[26:27]
	v_add_f64 v[168:169], v[10:11], v[18:19]
	v_fma_f64 v[18:19], v[216:217], s[20:21], -v[24:25]
	v_fma_f64 v[24:25], v[200:201], s[30:31], -v[32:33]
	;; [unrolled: 1-line block ×6, first 2 shown]
	v_add_f64 v[24:25], v[98:99], v[24:25]
	v_add_f64 v[20:21], v[20:21], v[24:25]
	v_add_f64 v[18:19], v[18:19], v[20:21]
	v_add_f64 v[16:17], v[16:17], v[18:19]
	v_add_f64 v[12:13], v[12:13], v[16:17]
	v_fma_f64 v[8:9], v[246:247], s[0:1], -v[8:9]
	v_add_f64 v[10:11], v[10:11], v[12:13]
	v_fma_f64 v[4:5], v[252:253], s[38:39], -v[4:5]
	v_add_f64 v[8:9], v[8:9], v[10:11]
	v_fmac_f64_e32 v[48:49], s[30:31], v[198:199]
	v_add_f64 v[182:183], v[4:5], v[8:9]
	v_fmac_f64_e32 v[44:45], s[16:17], v[204:205]
	;; [unrolled: 2-line block ×4, first 2 shown]
	v_add_f64 v[4:5], v[40:41], v[4:5]
	v_mul_f64 v[32:33], v[206:207], s[56:57]
	v_fmac_f64_e32 v[30:31], s[22:23], v[226:227]
	v_add_f64 v[4:5], v[36:37], v[4:5]
	s_mov_b32 s55, 0x3fc7851a
	s_mov_b32 s54, s28
	v_mul_f64 v[28:29], v[214:215], s[18:19]
	v_fma_f64 v[34:35], s[22:23], v[200:201], v[32:33]
	v_add_f64 v[4:5], v[30:31], v[4:5]
	v_mul_f64 v[24:25], v[224:225], s[54:55]
	v_fma_f64 v[30:31], s[0:1], v[208:209], v[28:29]
	v_add_f64 v[34:35], v[98:99], v[34:35]
	v_mul_f64 v[48:49], v[202:203], s[56:57]
	v_fmac_f64_e32 v[22:23], s[6:7], v[232:233]
	v_mul_f64 v[20:21], v[234:235], s[42:43]
	v_fma_f64 v[26:27], s[16:17], v[216:217], v[24:25]
	v_add_f64 v[30:31], v[30:31], v[34:35]
	v_mul_f64 v[44:45], v[210:211], s[18:19]
	v_fma_f64 v[50:51], v[198:199], s[22:23], -v[48:49]
	v_add_f64 v[4:5], v[22:23], v[4:5]
	v_mul_f64 v[16:17], v[242:243], s[52:53]
	v_fma_f64 v[22:23], s[20:21], v[222:223], v[20:21]
	v_add_f64 v[26:27], v[26:27], v[30:31]
	v_mul_f64 v[40:41], v[220:221], s[54:55]
	v_fma_f64 v[46:47], v[204:205], s[0:1], -v[44:45]
	v_add_f64 v[50:51], v[96:97], v[50:51]
	v_fmac_f64_e32 v[14:15], s[0:1], v[240:241]
	v_mul_f64 v[12:13], v[250:251], s[36:37]
	v_fma_f64 v[18:19], s[38:39], v[230:231], v[16:17]
	v_add_f64 v[22:23], v[22:23], v[26:27]
	v_mul_f64 v[36:37], v[228:229], s[42:43]
	v_fma_f64 v[42:43], v[212:213], s[16:17], -v[40:41]
	v_add_f64 v[46:47], v[46:47], v[50:51]
	v_fmac_f64_e32 v[6:7], s[38:39], v[248:249]
	v_add_f64 v[4:5], v[14:15], v[4:5]
	v_mul_f64 v[8:9], v[196:197], s[40:41]
	v_fma_f64 v[14:15], s[26:27], v[238:239], v[12:13]
	v_add_f64 v[18:19], v[18:19], v[22:23]
	v_mul_f64 v[30:31], v[236:237], s[52:53]
	v_fma_f64 v[38:39], v[218:219], s[20:21], -v[36:37]
	v_add_f64 v[42:43], v[42:43], v[46:47]
	v_add_f64 v[180:181], v[6:7], v[4:5]
	v_mul_f64 v[4:5], v[154:155], s[24:25]
	v_fma_f64 v[10:11], s[30:31], v[246:247], v[8:9]
	v_add_f64 v[14:15], v[14:15], v[18:19]
	v_mul_f64 v[22:23], v[244:245], s[36:37]
	v_fma_f64 v[34:35], v[226:227], s[38:39], -v[30:31]
	v_add_f64 v[38:39], v[38:39], v[42:43]
	v_fma_f64 v[6:7], s[6:7], v[252:253], v[4:5]
	v_add_f64 v[10:11], v[10:11], v[14:15]
	v_mul_f64 v[14:15], v[254:255], s[40:41]
	v_fma_f64 v[26:27], v[232:233], s[26:27], -v[22:23]
	v_add_f64 v[34:35], v[34:35], v[38:39]
	v_add_f64 v[178:179], v[6:7], v[10:11]
	v_mul_f64 v[6:7], v[152:153], s[24:25]
	v_fma_f64 v[18:19], v[240:241], s[30:31], -v[14:15]
	v_add_f64 v[26:27], v[26:27], v[34:35]
	v_fma_f64 v[10:11], v[248:249], s[6:7], -v[6:7]
	v_add_f64 v[18:19], v[18:19], v[26:27]
	v_add_f64 v[176:177], v[10:11], v[18:19]
	v_fma_f64 v[18:19], v[216:217], s[16:17], -v[24:25]
	v_fma_f64 v[24:25], v[200:201], s[22:23], -v[32:33]
	;; [unrolled: 1-line block ×6, first 2 shown]
	v_add_f64 v[24:25], v[98:99], v[24:25]
	v_add_f64 v[20:21], v[20:21], v[24:25]
	;; [unrolled: 1-line block ×5, first 2 shown]
	v_fma_f64 v[8:9], v[246:247], s[30:31], -v[8:9]
	v_add_f64 v[10:11], v[10:11], v[12:13]
	v_fma_f64 v[4:5], v[252:253], s[6:7], -v[4:5]
	v_add_f64 v[8:9], v[8:9], v[10:11]
	v_fmac_f64_e32 v[48:49], s[22:23], v[198:199]
	v_add_f64 v[190:191], v[4:5], v[8:9]
	v_fmac_f64_e32 v[44:45], s[0:1], v[204:205]
	;; [unrolled: 2-line block ×4, first 2 shown]
	v_add_f64 v[4:5], v[40:41], v[4:5]
	v_mul_f64 v[32:33], v[206:207], s[48:49]
	v_fmac_f64_e32 v[30:31], s[38:39], v[226:227]
	v_add_f64 v[4:5], v[36:37], v[4:5]
	v_mul_f64 v[28:29], v[214:215], s[40:41]
	v_fma_f64 v[34:35], s[38:39], v[200:201], v[32:33]
	v_add_f64 v[4:5], v[30:31], v[4:5]
	v_mul_f64 v[24:25], v[224:225], s[18:19]
	v_fma_f64 v[30:31], s[30:31], v[208:209], v[28:29]
	v_add_f64 v[34:35], v[98:99], v[34:35]
	v_mul_f64 v[48:49], v[202:203], s[48:49]
	v_fmac_f64_e32 v[22:23], s[26:27], v[232:233]
	v_mul_f64 v[20:21], v[234:235], s[28:29]
	v_fma_f64 v[26:27], s[0:1], v[216:217], v[24:25]
	v_add_f64 v[30:31], v[30:31], v[34:35]
	v_mul_f64 v[44:45], v[210:211], s[40:41]
	v_fma_f64 v[50:51], v[198:199], s[38:39], -v[48:49]
	v_add_f64 v[4:5], v[22:23], v[4:5]
	v_mul_f64 v[16:17], v[242:243], s[60:61]
	v_fma_f64 v[22:23], s[16:17], v[222:223], v[20:21]
	v_add_f64 v[26:27], v[26:27], v[30:31]
	v_mul_f64 v[40:41], v[220:221], s[18:19]
	v_fma_f64 v[46:47], v[204:205], s[30:31], -v[44:45]
	v_add_f64 v[50:51], v[96:97], v[50:51]
	v_fmac_f64_e32 v[14:15], s[30:31], v[240:241]
	v_mul_f64 v[12:13], v[250:251], s[42:43]
	v_fma_f64 v[18:19], s[6:7], v[230:231], v[16:17]
	v_add_f64 v[22:23], v[22:23], v[26:27]
	v_mul_f64 v[36:37], v[228:229], s[28:29]
	v_fma_f64 v[42:43], v[212:213], s[0:1], -v[40:41]
	v_add_f64 v[46:47], v[46:47], v[50:51]
	v_fmac_f64_e32 v[6:7], s[6:7], v[248:249]
	v_add_f64 v[4:5], v[14:15], v[4:5]
	v_mul_f64 v[8:9], v[196:197], s[44:45]
	v_fma_f64 v[14:15], s[20:21], v[238:239], v[12:13]
	v_add_f64 v[18:19], v[18:19], v[22:23]
	v_mul_f64 v[30:31], v[236:237], s[60:61]
	v_fma_f64 v[38:39], v[218:219], s[16:17], -v[36:37]
	v_add_f64 v[42:43], v[42:43], v[46:47]
	v_add_f64 v[188:189], v[6:7], v[4:5]
	v_mul_f64 v[4:5], v[154:155], s[46:47]
	v_fma_f64 v[10:11], s[22:23], v[246:247], v[8:9]
	v_add_f64 v[14:15], v[14:15], v[18:19]
	v_mul_f64 v[22:23], v[244:245], s[42:43]
	v_fma_f64 v[34:35], v[226:227], s[6:7], -v[30:31]
	v_add_f64 v[38:39], v[38:39], v[42:43]
	v_fma_f64 v[6:7], s[26:27], v[252:253], v[4:5]
	v_add_f64 v[10:11], v[10:11], v[14:15]
	v_mul_f64 v[14:15], v[254:255], s[44:45]
	v_fma_f64 v[26:27], v[232:233], s[20:21], -v[22:23]
	v_add_f64 v[34:35], v[34:35], v[38:39]
	v_add_f64 v[186:187], v[6:7], v[10:11]
	v_mul_f64 v[10:11], v[152:153], s[46:47]
	v_fma_f64 v[18:19], v[240:241], s[22:23], -v[14:15]
	v_add_f64 v[26:27], v[26:27], v[34:35]
	v_fma_f64 v[6:7], v[248:249], s[26:27], -v[10:11]
	v_add_f64 v[18:19], v[18:19], v[26:27]
	v_add_f64 v[184:185], v[6:7], v[18:19]
	v_fma_f64 v[18:19], v[216:217], s[0:1], -v[24:25]
	v_fma_f64 v[24:25], v[200:201], s[38:39], -v[32:33]
	;; [unrolled: 1-line block ×7, first 2 shown]
	v_add_f64 v[24:25], v[98:99], v[24:25]
	v_add_f64 v[20:21], v[20:21], v[24:25]
	;; [unrolled: 1-line block ×6, first 2 shown]
	v_fma_f64 v[4:5], v[252:253], s[26:27], -v[4:5]
	v_add_f64 v[6:7], v[6:7], v[8:9]
	v_fmac_f64_e32 v[48:49], s[38:39], v[198:199]
	v_add_f64 v[6:7], v[4:5], v[6:7]
	v_fmac_f64_e32 v[44:45], s[30:31], v[204:205]
	v_add_f64 v[4:5], v[96:97], v[48:49]
	v_fmac_f64_e32 v[40:41], s[0:1], v[212:213]
	v_add_f64 v[4:5], v[44:45], v[4:5]
	v_fmac_f64_e32 v[36:37], s[16:17], v[218:219]
	v_add_f64 v[4:5], v[40:41], v[4:5]
	v_add_f64 v[4:5], v[36:37], v[4:5]
	v_mul_f64 v[36:37], v[206:207], s[36:37]
	v_mul_f64 v[32:33], v[214:215], s[48:49]
	v_fma_f64 v[38:39], s[26:27], v[200:201], v[36:37]
	v_mul_f64 v[54:55], v[202:203], s[36:37]
	v_fmac_f64_e32 v[30:31], s[6:7], v[226:227]
	v_mul_f64 v[28:29], v[224:225], s[56:57]
	v_fma_f64 v[34:35], s[38:39], v[208:209], v[32:33]
	v_add_f64 v[38:39], v[98:99], v[38:39]
	v_mul_f64 v[50:51], v[210:211], s[48:49]
	v_fma_f64 v[56:57], v[198:199], s[26:27], -v[54:55]
	v_add_f64 v[4:5], v[30:31], v[4:5]
	v_mul_f64 v[24:25], v[234:235], s[40:41]
	v_fma_f64 v[30:31], s[22:23], v[216:217], v[28:29]
	v_add_f64 v[34:35], v[34:35], v[38:39]
	v_mul_f64 v[46:47], v[220:221], s[56:57]
	v_fma_f64 v[52:53], v[204:205], s[38:39], -v[50:51]
	v_add_f64 v[56:57], v[96:97], v[56:57]
	v_fmac_f64_e32 v[22:23], s[20:21], v[232:233]
	v_mul_f64 v[20:21], v[242:243], s[50:51]
	v_fma_f64 v[26:27], s[30:31], v[222:223], v[24:25]
	v_add_f64 v[30:31], v[30:31], v[34:35]
	v_mul_f64 v[42:43], v[228:229], s[40:41]
	v_fma_f64 v[48:49], v[212:213], s[22:23], -v[46:47]
	v_add_f64 v[52:53], v[52:53], v[56:57]
	v_fmac_f64_e32 v[14:15], s[22:23], v[240:241]
	v_add_f64 v[4:5], v[22:23], v[4:5]
	v_mul_f64 v[16:17], v[250:251], s[18:19]
	v_fma_f64 v[22:23], s[20:21], v[230:231], v[20:21]
	v_add_f64 v[26:27], v[26:27], v[30:31]
	v_mul_f64 v[38:39], v[236:237], s[50:51]
	v_fma_f64 v[44:45], v[218:219], s[30:31], -v[42:43]
	v_add_f64 v[48:49], v[48:49], v[52:53]
	v_fmac_f64_e32 v[10:11], s[26:27], v[248:249]
	v_add_f64 v[4:5], v[14:15], v[4:5]
	v_mul_f64 v[14:15], v[196:197], s[24:25]
	v_fma_f64 v[18:19], s[0:1], v[238:239], v[16:17]
	v_add_f64 v[22:23], v[22:23], v[26:27]
	v_mul_f64 v[30:31], v[244:245], s[18:19]
	v_fma_f64 v[40:41], v[226:227], s[20:21], -v[38:39]
	v_add_f64 v[44:45], v[44:45], v[48:49]
	v_add_f64 v[4:5], v[10:11], v[4:5]
	v_mul_f64 v[12:13], v[154:155], s[28:29]
	v_fma_f64 v[10:11], s[6:7], v[246:247], v[14:15]
	v_add_f64 v[18:19], v[18:19], v[22:23]
	v_mul_f64 v[22:23], v[254:255], s[24:25]
	v_fma_f64 v[34:35], v[232:233], s[0:1], -v[30:31]
	v_add_f64 v[40:41], v[40:41], v[44:45]
	v_fma_f64 v[8:9], s[16:17], v[252:253], v[12:13]
	v_add_f64 v[10:11], v[10:11], v[18:19]
	v_mul_f64 v[18:19], v[152:153], s[28:29]
	v_fma_f64 v[26:27], v[240:241], s[6:7], -v[22:23]
	v_add_f64 v[34:35], v[34:35], v[40:41]
	v_add_f64 v[10:11], v[8:9], v[10:11]
	v_fma_f64 v[8:9], v[248:249], s[16:17], -v[18:19]
	v_add_f64 v[26:27], v[26:27], v[34:35]
	v_add_f64 v[8:9], v[8:9], v[26:27]
	v_fma_f64 v[26:27], v[216:217], s[22:23], -v[28:29]
	v_fma_f64 v[28:29], v[208:209], s[38:39], -v[32:33]
	;; [unrolled: 1-line block ×3, first 2 shown]
	v_add_f64 v[32:33], v[98:99], v[32:33]
	v_add_f64 v[28:29], v[28:29], v[32:33]
	v_fma_f64 v[24:25], v[222:223], s[30:31], -v[24:25]
	v_add_f64 v[26:27], v[26:27], v[28:29]
	v_fma_f64 v[20:21], v[230:231], s[20:21], -v[20:21]
	;; [unrolled: 2-line block ×4, first 2 shown]
	v_add_f64 v[16:17], v[16:17], v[20:21]
	v_add_f64 v[14:15], v[14:15], v[16:17]
	v_add_f64 v[16:17], v[98:99], v[102:103]
	v_add_f64 v[16:17], v[16:17], v[106:107]
	v_add_f64 v[16:17], v[16:17], v[110:111]
	v_fma_f64 v[12:13], v[252:253], s[16:17], -v[12:13]
	v_fmac_f64_e32 v[54:55], s[26:27], v[198:199]
	v_add_f64 v[16:17], v[16:17], v[114:115]
	v_add_f64 v[14:15], v[12:13], v[14:15]
	v_fmac_f64_e32 v[50:51], s[38:39], v[204:205]
	v_add_f64 v[12:13], v[96:97], v[54:55]
	v_add_f64 v[16:17], v[16:17], v[126:127]
	;; [unrolled: 3-line block ×7, first 2 shown]
	v_add_f64 v[12:13], v[22:23], v[12:13]
	v_add_f64 v[16:17], v[16:17], v[94:95]
	v_accvgpr_read_b32 v20, a68
	v_add_f64 v[16:17], v[16:17], v[78:79]
	v_accvgpr_read_b32 v22, a70
	v_accvgpr_read_b32 v23, a71
	v_add_f64 v[16:17], v[16:17], v[22:23]
	v_add_f64 v[16:17], v[16:17], v[74:75]
	v_fmac_f64_e32 v[18:19], s[16:17], v[248:249]
	v_add_f64 v[16:17], v[16:17], v[70:71]
	v_add_f64 v[12:13], v[18:19], v[12:13]
	;; [unrolled: 1-line block ×14, first 2 shown]
	v_accvgpr_read_b32 v21, a69
	v_add_f64 v[16:17], v[16:17], v[76:77]
	v_add_f64 v[16:17], v[16:17], v[20:21]
	v_accvgpr_write_b32 a72, v80
	v_add_f64 v[16:17], v[16:17], v[72:73]
	v_accvgpr_write_b32 a73, v81
	v_accvgpr_write_b32 a74, v82
	;; [unrolled: 1-line block ×3, first 2 shown]
	v_accvgpr_read_b32 v83, a79
	v_add_f64 v[16:17], v[16:17], v[68:69]
	v_accvgpr_read_b32 v20, a1
	v_accvgpr_read_b32 v21, a3
	;; [unrolled: 1-line block ×5, first 2 shown]
	v_add_f64 v[16:17], v[16:17], v[64:65]
	v_lshl_add_u32 v20, v21, 4, v20
	ds_write_b128 v20, v[16:19]
	ds_write_b128 v20, v[12:15] offset:16
	ds_write_b128 v20, v[4:7] offset:32
	;; [unrolled: 1-line block ×16, first 2 shown]
.LBB0_17:
	s_or_b64 exec, exec, s[34:35]
	s_waitcnt lgkmcnt(0)
	s_barrier
	ds_read_b128 v[8:11], v160
	ds_read_b128 v[4:7], v160 offset:816
	ds_read_b128 v[96:99], v160 offset:5984
	;; [unrolled: 1-line block ×8, first 2 shown]
	s_and_saveexec_b64 s[0:1], s[2:3]
	s_cbranch_execz .LBB0_19
; %bb.18:
	ds_read_b128 v[140:143], v160 offset:2448
	ds_read_b128 v[144:147], v160 offset:5440
	;; [unrolled: 1-line block ×3, first 2 shown]
.LBB0_19:
	s_or_b64 exec, exec, s[0:1]
	v_accvgpr_read_b32 v24, a54
	v_accvgpr_read_b32 v26, a56
	;; [unrolled: 1-line block ×5, first 2 shown]
	s_waitcnt lgkmcnt(4)
	v_mul_f64 v[20:21], v[26:27], v[106:107]
	v_mul_f64 v[22:23], v[26:27], v[104:105]
	v_accvgpr_read_b32 v30, a52
	v_accvgpr_read_b32 v31, a53
	;; [unrolled: 1-line block ×3, first 2 shown]
	v_fmac_f64_e32 v[20:21], v[24:25], v[104:105]
	v_fma_f64 v[22:23], v[24:25], v[106:107], -v[22:23]
	v_accvgpr_read_b32 v29, a51
	v_mul_f64 v[24:25], v[30:31], v[98:99]
	v_mul_f64 v[26:27], v[30:31], v[96:97]
	v_accvgpr_read_b32 v34, a40
	v_accvgpr_read_b32 v35, a41
	;; [unrolled: 1-line block ×3, first 2 shown]
	v_fmac_f64_e32 v[24:25], v[28:29], v[96:97]
	v_fma_f64 v[26:27], v[28:29], v[98:99], -v[26:27]
	v_accvgpr_read_b32 v33, a39
	s_waitcnt lgkmcnt(2)
	v_mul_f64 v[28:29], v[34:35], v[102:103]
	v_mul_f64 v[30:31], v[34:35], v[100:101]
	v_accvgpr_read_b32 v38, a36
	v_fmac_f64_e32 v[28:29], v[32:33], v[100:101]
	v_fma_f64 v[30:31], v[32:33], v[102:103], -v[30:31]
	v_mul_f64 v[32:33], v[38:39], v[94:95]
	v_mul_f64 v[34:35], v[38:39], v[92:93]
	v_accvgpr_read_b32 v38, a46
	v_accvgpr_read_b32 v37, a35
	;; [unrolled: 1-line block ×5, first 2 shown]
	v_fmac_f64_e32 v[32:33], v[36:37], v[92:93]
	v_fma_f64 v[34:35], v[36:37], v[94:95], -v[34:35]
	v_accvgpr_read_b32 v39, a47
	s_waitcnt lgkmcnt(1)
	v_mul_f64 v[36:37], v[40:41], v[18:19]
	v_fmac_f64_e32 v[36:37], v[38:39], v[16:17]
	v_mul_f64 v[16:17], v[40:41], v[16:17]
	v_fma_f64 v[38:39], v[38:39], v[18:19], -v[16:17]
	v_accvgpr_read_b32 v16, a42
	v_accvgpr_read_b32 v18, a44
	;; [unrolled: 1-line block ×4, first 2 shown]
	s_waitcnt lgkmcnt(0)
	v_mul_f64 v[40:41], v[18:19], v[14:15]
	v_fmac_f64_e32 v[40:41], v[16:17], v[12:13]
	v_mul_f64 v[12:13], v[18:19], v[12:13]
	v_fma_f64 v[42:43], v[16:17], v[14:15], -v[12:13]
	v_add_f64 v[14:15], v[20:21], v[24:25]
	s_mov_b32 s0, 0xe8584caa
	v_add_f64 v[12:13], v[8:9], v[20:21]
	v_fmac_f64_e32 v[8:9], -0.5, v[14:15]
	v_add_f64 v[14:15], v[22:23], -v[26:27]
	s_mov_b32 s1, 0xbfebb67a
	s_mov_b32 s7, 0x3febb67a
	;; [unrolled: 1-line block ×3, first 2 shown]
	v_add_f64 v[18:19], v[22:23], v[26:27]
	v_fma_f64 v[16:17], s[0:1], v[14:15], v[8:9]
	v_fmac_f64_e32 v[8:9], s[6:7], v[14:15]
	v_add_f64 v[14:15], v[10:11], v[22:23]
	v_fmac_f64_e32 v[10:11], -0.5, v[18:19]
	v_add_f64 v[20:21], v[20:21], -v[24:25]
	v_add_f64 v[22:23], v[28:29], v[32:33]
	v_add_f64 v[14:15], v[14:15], v[26:27]
	v_fma_f64 v[18:19], s[6:7], v[20:21], v[10:11]
	v_fmac_f64_e32 v[10:11], s[0:1], v[20:21]
	v_add_f64 v[20:21], v[4:5], v[28:29]
	v_fmac_f64_e32 v[4:5], -0.5, v[22:23]
	v_add_f64 v[22:23], v[30:31], -v[34:35]
	v_add_f64 v[26:27], v[30:31], v[34:35]
	v_add_f64 v[12:13], v[12:13], v[24:25]
	v_fma_f64 v[24:25], s[0:1], v[22:23], v[4:5]
	v_fmac_f64_e32 v[4:5], s[6:7], v[22:23]
	v_add_f64 v[22:23], v[6:7], v[30:31]
	v_fmac_f64_e32 v[6:7], -0.5, v[26:27]
	v_add_f64 v[28:29], v[28:29], -v[32:33]
	v_add_f64 v[30:31], v[36:37], v[40:41]
	v_add_f64 v[22:23], v[22:23], v[34:35]
	v_fma_f64 v[26:27], s[6:7], v[28:29], v[6:7]
	v_fmac_f64_e32 v[6:7], s[0:1], v[28:29]
	v_add_f64 v[28:29], v[0:1], v[36:37]
	v_fmac_f64_e32 v[0:1], -0.5, v[30:31]
	v_add_f64 v[30:31], v[38:39], -v[42:43]
	v_add_f64 v[34:35], v[38:39], v[42:43]
	v_add_f64 v[20:21], v[20:21], v[32:33]
	v_fma_f64 v[32:33], s[0:1], v[30:31], v[0:1]
	v_fmac_f64_e32 v[0:1], s[6:7], v[30:31]
	v_add_f64 v[30:31], v[2:3], v[38:39]
	v_fmac_f64_e32 v[2:3], -0.5, v[34:35]
	v_add_f64 v[36:37], v[36:37], -v[40:41]
	v_fma_f64 v[34:35], s[6:7], v[36:37], v[2:3]
	v_fmac_f64_e32 v[2:3], s[0:1], v[36:37]
	v_accvgpr_read_b32 v36, a59
	v_add_f64 v[28:29], v[28:29], v[40:41]
	v_add_f64 v[30:31], v[30:31], v[42:43]
	s_barrier
	ds_write_b128 v36, v[12:15]
	ds_write_b128 v36, v[16:19] offset:272
	ds_write_b128 v36, v[8:11] offset:544
	ds_write_b128 v161, v[20:23]
	ds_write_b128 v161, v[24:27] offset:272
	ds_write_b128 v161, v[4:7] offset:544
	;; [unrolled: 3-line block ×3, first 2 shown]
	s_and_saveexec_b64 s[16:17], s[2:3]
	s_cbranch_execz .LBB0_21
; %bb.20:
	v_accvgpr_read_b32 v10, a30
	v_accvgpr_read_b32 v12, a32
	;; [unrolled: 1-line block ×5, first 2 shown]
	v_mul_f64 v[0:1], v[12:13], v[144:145]
	v_accvgpr_read_b32 v18, a28
	v_accvgpr_read_b32 v19, a29
	v_fma_f64 v[4:5], v[10:11], v[146:147], -v[0:1]
	v_accvgpr_read_b32 v17, a27
	v_mul_f64 v[0:1], v[18:19], v[148:149]
	v_fma_f64 v[8:9], v[16:17], v[150:151], -v[0:1]
	v_mul_f64 v[12:13], v[12:13], v[146:147]
	v_mul_f64 v[14:15], v[18:19], v[150:151]
	v_add_f64 v[0:1], v[4:5], v[8:9]
	v_fmac_f64_e32 v[12:13], v[10:11], v[144:145]
	v_fmac_f64_e32 v[14:15], v[16:17], v[148:149]
	v_fma_f64 v[2:3], -0.5, v[0:1], v[142:143]
	v_add_f64 v[0:1], v[12:13], -v[14:15]
	v_fma_f64 v[6:7], s[0:1], v[0:1], v[2:3]
	v_fmac_f64_e32 v[2:3], s[6:7], v[0:1]
	v_add_f64 v[0:1], v[142:143], v[4:5]
	v_add_f64 v[10:11], v[0:1], v[8:9]
	;; [unrolled: 1-line block ×3, first 2 shown]
	v_fma_f64 v[0:1], -0.5, v[0:1], v[140:141]
	v_add_f64 v[8:9], v[4:5], -v[8:9]
	v_fma_f64 v[4:5], s[6:7], v[8:9], v[0:1]
	v_fmac_f64_e32 v[0:1], s[0:1], v[8:9]
	v_add_f64 v[8:9], v[140:141], v[12:13]
	v_accvgpr_read_b32 v12, a5
	v_accvgpr_read_b32 v13, a58
	v_add_u32_sdwa v12, v13, v12 dst_sel:DWORD dst_unused:UNUSED_PAD src0_sel:DWORD src1_sel:BYTE_0
	v_accvgpr_read_b32 v13, a1
	v_add_f64 v[8:9], v[8:9], v[14:15]
	v_lshl_add_u32 v12, v12, 4, v13
	ds_write_b128 v12, v[8:11]
	ds_write_b128 v12, v[0:3] offset:272
	ds_write_b128 v12, v[4:7] offset:544
.LBB0_21:
	s_or_b64 exec, exec, s[16:17]
	v_accvgpr_read_b32 v51, a21
	v_accvgpr_read_b32 v50, a20
	s_waitcnt lgkmcnt(0)
	s_barrier
	ds_read_b128 v[4:7], v160
	ds_read_b128 v[0:3], v160 offset:816
	ds_read_b128 v[8:11], v160 offset:1632
	;; [unrolled: 1-line block ×10, first 2 shown]
	v_accvgpr_read_b32 v49, a19
	v_accvgpr_read_b32 v48, a18
	s_waitcnt lgkmcnt(9)
	v_mul_f64 v[46:47], v[50:51], v[2:3]
	v_accvgpr_read_b32 v55, a17
	v_fmac_f64_e32 v[46:47], v[48:49], v[0:1]
	v_mul_f64 v[0:1], v[50:51], v[0:1]
	v_accvgpr_read_b32 v54, a16
	v_fma_f64 v[48:49], v[48:49], v[2:3], -v[0:1]
	v_accvgpr_read_b32 v53, a15
	v_accvgpr_read_b32 v52, a14
	s_waitcnt lgkmcnt(8)
	v_mul_f64 v[50:51], v[54:55], v[10:11]
	v_mul_f64 v[0:1], v[54:55], v[8:9]
	v_fmac_f64_e32 v[50:51], v[52:53], v[8:9]
	v_fma_f64 v[52:53], v[52:53], v[10:11], -v[0:1]
	v_accvgpr_read_b32 v8, a10
	v_accvgpr_read_b32 v10, a12
	;; [unrolled: 1-line block ×4, first 2 shown]
	s_waitcnt lgkmcnt(7)
	v_mul_f64 v[54:55], v[10:11], v[14:15]
	v_mul_f64 v[0:1], v[10:11], v[12:13]
	v_fmac_f64_e32 v[54:55], v[8:9], v[12:13]
	v_fma_f64 v[56:57], v[8:9], v[14:15], -v[0:1]
	v_accvgpr_read_b32 v11, a9
	v_accvgpr_read_b32 v10, a8
	;; [unrolled: 1-line block ×4, first 2 shown]
	s_waitcnt lgkmcnt(6)
	v_mul_f64 v[16:17], v[10:11], v[20:21]
	v_mul_f64 v[0:1], v[10:11], v[18:19]
	v_fmac_f64_e32 v[16:17], v[8:9], v[18:19]
	v_fma_f64 v[18:19], v[8:9], v[20:21], -v[0:1]
	s_waitcnt lgkmcnt(5)
	v_mul_f64 v[8:9], v[82:83], v[24:25]
	v_fmac_f64_e32 v[8:9], v[80:81], v[22:23]
	v_mul_f64 v[0:1], v[82:83], v[22:23]
	v_accvgpr_read_b32 v20, a64
	v_accvgpr_read_b32 v22, a66
	;; [unrolled: 1-line block ×3, first 2 shown]
	v_fma_f64 v[10:11], v[80:81], v[24:25], -v[0:1]
	v_accvgpr_read_b32 v21, a65
	s_waitcnt lgkmcnt(4)
	v_mul_f64 v[12:13], v[22:23], v[28:29]
	v_mul_f64 v[0:1], v[22:23], v[26:27]
	v_accvgpr_read_b32 v22, a60
	v_fmac_f64_e32 v[12:13], v[20:21], v[26:27]
	v_fma_f64 v[14:15], v[20:21], v[28:29], -v[0:1]
	v_accvgpr_read_b32 v24, a62
	v_accvgpr_read_b32 v25, a63
	;; [unrolled: 1-line block ×4, first 2 shown]
	s_waitcnt lgkmcnt(3)
	v_mul_f64 v[20:21], v[24:25], v[32:33]
	v_mul_f64 v[0:1], v[24:25], v[30:31]
	v_accvgpr_read_b32 v28, a24
	v_fmac_f64_e32 v[20:21], v[22:23], v[30:31]
	v_fma_f64 v[22:23], v[22:23], v[32:33], -v[0:1]
	v_accvgpr_read_b32 v27, a23
	v_accvgpr_read_b32 v26, a22
	s_waitcnt lgkmcnt(2)
	v_mul_f64 v[24:25], v[28:29], v[36:37]
	v_mul_f64 v[0:1], v[28:29], v[34:35]
	v_add_f64 v[2:3], v[6:7], v[48:49]
	v_fmac_f64_e32 v[24:25], v[26:27], v[34:35]
	v_fma_f64 v[26:27], v[26:27], v[36:37], -v[0:1]
	s_waitcnt lgkmcnt(1)
	v_mul_f64 v[0:1], v[90:91], v[38:39]
	v_add_f64 v[2:3], v[2:3], v[52:53]
	v_fma_f64 v[30:31], v[88:89], v[40:41], -v[0:1]
	s_waitcnt lgkmcnt(0)
	v_mul_f64 v[0:1], v[86:87], v[42:43]
	v_add_f64 v[2:3], v[2:3], v[56:57]
	v_fma_f64 v[34:35], v[84:85], v[44:45], -v[0:1]
	v_add_f64 v[0:1], v[4:5], v[46:47]
	v_add_f64 v[2:3], v[2:3], v[18:19]
	;; [unrolled: 1-line block ×10, first 2 shown]
	v_mul_f64 v[28:29], v[90:91], v[40:41]
	v_mul_f64 v[32:33], v[86:87], v[44:45]
	v_add_f64 v[0:1], v[0:1], v[12:13]
	v_add_f64 v[2:3], v[2:3], v[30:31]
	s_mov_b32 s20, 0xf8bb580b
	s_mov_b32 s2, 0x8eee2c13
	;; [unrolled: 1-line block ×5, first 2 shown]
	v_fmac_f64_e32 v[28:29], v[88:89], v[38:39]
	v_fmac_f64_e32 v[32:33], v[84:85], v[42:43]
	v_add_f64 v[0:1], v[0:1], v[20:21]
	v_add_f64 v[2:3], v[2:3], v[34:35]
	;; [unrolled: 1-line block ×3, first 2 shown]
	v_add_f64 v[34:35], v[48:49], -v[34:35]
	s_mov_b32 s21, 0xbfe14ced
	s_mov_b32 s22, 0x8764f0ba
	;; [unrolled: 1-line block ×10, first 2 shown]
	v_add_f64 v[0:1], v[0:1], v[24:25]
	v_add_f64 v[36:37], v[46:47], v[32:33]
	v_mul_f64 v[40:41], v[34:35], s[20:21]
	s_mov_b32 s23, 0x3feaeb8c
	v_mul_f64 v[48:49], v[34:35], s[2:3]
	s_mov_b32 s7, 0x3fda9628
	;; [unrolled: 2-line block ×5, first 2 shown]
	v_add_f64 v[0:1], v[0:1], v[28:29]
	v_fma_f64 v[42:43], s[22:23], v[36:37], v[40:41]
	v_fma_f64 v[40:41], v[36:37], s[22:23], -v[40:41]
	v_fma_f64 v[60:61], s[6:7], v[36:37], v[48:49]
	v_fma_f64 v[48:49], v[36:37], s[6:7], -v[48:49]
	;; [unrolled: 2-line block ×5, first 2 shown]
	v_add_f64 v[0:1], v[0:1], v[32:33]
	v_add_f64 v[32:33], v[46:47], -v[32:33]
	v_add_f64 v[42:43], v[4:5], v[42:43]
	v_mul_f64 v[44:45], v[38:39], s[22:23]
	s_mov_b32 s25, 0x3fe14ced
	s_mov_b32 s24, s20
	v_add_f64 v[40:41], v[4:5], v[40:41]
	v_add_f64 v[60:61], v[4:5], v[60:61]
	v_mul_f64 v[62:63], v[38:39], s[6:7]
	s_mov_b32 s17, 0x3fed1bb4
	s_mov_b32 s16, s2
	v_add_f64 v[48:49], v[4:5], v[48:49]
	v_add_f64 v[68:69], v[4:5], v[68:69]
	v_mul_f64 v[70:71], v[38:39], s[18:19]
	s_mov_b32 s27, 0x3fefac9e
	s_mov_b32 s26, s0
	v_add_f64 v[66:67], v[4:5], v[66:67]
	v_add_f64 v[76:77], v[4:5], v[76:77]
	v_mul_f64 v[78:79], v[38:39], s[30:31]
	s_mov_b32 s35, 0x3fe82f19
	s_mov_b32 s34, s28
	v_add_f64 v[74:75], v[4:5], v[74:75]
	v_add_f64 v[82:83], v[4:5], v[82:83]
	v_mul_f64 v[38:39], v[38:39], s[38:39]
	s_mov_b32 s41, 0x3fd207e7
	s_mov_b32 s40, s36
	v_add_f64 v[4:5], v[4:5], v[34:35]
	v_add_f64 v[34:35], v[52:53], v[30:31]
	v_add_f64 v[30:31], v[52:53], -v[30:31]
	v_fma_f64 v[46:47], s[24:25], v[32:33], v[44:45]
	v_fmac_f64_e32 v[44:45], s[20:21], v[32:33]
	v_fma_f64 v[64:65], s[16:17], v[32:33], v[62:63]
	v_fmac_f64_e32 v[62:63], s[2:3], v[32:33]
	;; [unrolled: 2-line block ×5, first 2 shown]
	v_add_f64 v[32:33], v[50:51], v[28:29]
	v_mul_f64 v[36:37], v[30:31], s[2:3]
	v_add_f64 v[46:47], v[6:7], v[46:47]
	v_add_f64 v[44:45], v[6:7], v[44:45]
	;; [unrolled: 1-line block ×10, first 2 shown]
	v_fma_f64 v[38:39], s[6:7], v[32:33], v[36:37]
	v_add_f64 v[28:29], v[50:51], -v[28:29]
	v_add_f64 v[38:39], v[38:39], v[42:43]
	v_mul_f64 v[42:43], v[34:35], s[6:7]
	v_fma_f64 v[50:51], s[16:17], v[28:29], v[42:43]
	v_fma_f64 v[36:37], v[32:33], s[6:7], -v[36:37]
	v_fmac_f64_e32 v[42:43], s[2:3], v[28:29]
	v_add_f64 v[46:47], v[50:51], v[46:47]
	v_add_f64 v[36:37], v[36:37], v[40:41]
	;; [unrolled: 1-line block ×3, first 2 shown]
	v_mul_f64 v[42:43], v[30:31], s[28:29]
	v_mul_f64 v[50:51], v[34:35], s[30:31]
	v_fma_f64 v[44:45], s[30:31], v[32:33], v[42:43]
	v_fma_f64 v[52:53], s[34:35], v[28:29], v[50:51]
	v_fma_f64 v[42:43], v[32:33], s[30:31], -v[42:43]
	v_fmac_f64_e32 v[50:51], s[28:29], v[28:29]
	v_add_f64 v[42:43], v[42:43], v[48:49]
	v_add_f64 v[48:49], v[50:51], v[62:63]
	v_mul_f64 v[50:51], v[30:31], s[40:41]
	v_add_f64 v[44:45], v[44:45], v[60:61]
	v_fma_f64 v[60:61], s[38:39], v[32:33], v[50:51]
	v_fma_f64 v[50:51], v[32:33], s[38:39], -v[50:51]
	v_add_f64 v[50:51], v[50:51], v[66:67]
	v_mul_f64 v[66:67], v[30:31], s[26:27]
	v_add_f64 v[60:61], v[60:61], v[68:69]
	v_mul_f64 v[62:63], v[34:35], s[38:39]
	v_fma_f64 v[68:69], s[18:19], v[32:33], v[66:67]
	v_fma_f64 v[66:67], v[32:33], s[18:19], -v[66:67]
	v_mul_f64 v[30:31], v[30:31], s[24:25]
	v_add_f64 v[52:53], v[52:53], v[64:65]
	v_fma_f64 v[64:65], s[36:37], v[28:29], v[62:63]
	v_fmac_f64_e32 v[62:63], s[40:41], v[28:29]
	v_add_f64 v[66:67], v[66:67], v[74:75]
	v_fma_f64 v[74:75], s[22:23], v[32:33], v[30:31]
	v_fma_f64 v[30:31], v[32:33], s[22:23], -v[30:31]
	v_add_f64 v[62:63], v[62:63], v[70:71]
	v_mul_f64 v[70:71], v[34:35], s[18:19]
	v_mul_f64 v[34:35], v[34:35], s[22:23]
	v_add_f64 v[4:5], v[30:31], v[4:5]
	v_add_f64 v[30:31], v[56:57], v[26:27]
	v_add_f64 v[26:27], v[56:57], -v[26:27]
	v_add_f64 v[64:65], v[64:65], v[72:73]
	v_add_f64 v[68:69], v[68:69], v[76:77]
	v_fma_f64 v[72:73], s[0:1], v[28:29], v[70:71]
	v_fmac_f64_e32 v[70:71], s[26:27], v[28:29]
	v_fma_f64 v[76:77], s[20:21], v[28:29], v[34:35]
	v_fmac_f64_e32 v[34:35], s[24:25], v[28:29]
	v_add_f64 v[28:29], v[54:55], v[24:25]
	v_mul_f64 v[32:33], v[26:27], s[0:1]
	v_add_f64 v[6:7], v[34:35], v[6:7]
	v_fma_f64 v[34:35], s[18:19], v[28:29], v[32:33]
	v_add_f64 v[24:25], v[54:55], -v[24:25]
	v_add_f64 v[34:35], v[34:35], v[38:39]
	v_mul_f64 v[38:39], v[30:31], s[18:19]
	v_fma_f64 v[54:55], s[26:27], v[24:25], v[38:39]
	v_fma_f64 v[32:33], v[28:29], s[18:19], -v[32:33]
	v_fmac_f64_e32 v[38:39], s[0:1], v[24:25]
	v_add_f64 v[32:33], v[32:33], v[36:37]
	v_add_f64 v[36:37], v[38:39], v[40:41]
	v_mul_f64 v[38:39], v[26:27], s[40:41]
	v_fma_f64 v[40:41], s[38:39], v[28:29], v[38:39]
	v_add_f64 v[40:41], v[40:41], v[44:45]
	v_mul_f64 v[44:45], v[30:31], s[38:39]
	v_add_f64 v[46:47], v[54:55], v[46:47]
	v_fma_f64 v[54:55], s[36:37], v[24:25], v[44:45]
	v_fma_f64 v[38:39], v[28:29], s[38:39], -v[38:39]
	v_fmac_f64_e32 v[44:45], s[40:41], v[24:25]
	v_add_f64 v[52:53], v[54:55], v[52:53]
	v_add_f64 v[38:39], v[38:39], v[42:43]
	;; [unrolled: 1-line block ×3, first 2 shown]
	v_mul_f64 v[44:45], v[26:27], s[16:17]
	v_mul_f64 v[54:55], v[30:31], s[6:7]
	v_fma_f64 v[48:49], s[6:7], v[28:29], v[44:45]
	v_fma_f64 v[56:57], s[2:3], v[24:25], v[54:55]
	v_fma_f64 v[44:45], v[28:29], s[6:7], -v[44:45]
	v_fmac_f64_e32 v[54:55], s[16:17], v[24:25]
	v_add_f64 v[44:45], v[44:45], v[50:51]
	v_add_f64 v[50:51], v[54:55], v[62:63]
	v_mul_f64 v[54:55], v[26:27], s[20:21]
	v_add_f64 v[48:49], v[48:49], v[60:61]
	v_fma_f64 v[60:61], s[22:23], v[28:29], v[54:55]
	v_fma_f64 v[54:55], v[28:29], s[22:23], -v[54:55]
	v_mul_f64 v[26:27], v[26:27], s[28:29]
	v_add_f64 v[54:55], v[54:55], v[66:67]
	v_fma_f64 v[66:67], s[30:31], v[28:29], v[26:27]
	v_fma_f64 v[26:27], v[28:29], s[30:31], -v[26:27]
	v_mul_f64 v[62:63], v[30:31], s[22:23]
	v_mul_f64 v[30:31], v[30:31], s[30:31]
	v_add_f64 v[4:5], v[26:27], v[4:5]
	v_add_f64 v[26:27], v[18:19], v[22:23]
	v_add_f64 v[18:19], v[18:19], -v[22:23]
	v_add_f64 v[56:57], v[56:57], v[64:65]
	v_add_f64 v[60:61], v[60:61], v[68:69]
	v_fma_f64 v[64:65], s[24:25], v[24:25], v[62:63]
	v_fmac_f64_e32 v[62:63], s[20:21], v[24:25]
	v_fma_f64 v[68:69], s[34:35], v[24:25], v[30:31]
	v_fmac_f64_e32 v[30:31], s[28:29], v[24:25]
	v_add_f64 v[24:25], v[16:17], v[20:21]
	v_add_f64 v[16:17], v[16:17], -v[20:21]
	v_mul_f64 v[20:21], v[18:19], s[28:29]
	v_fma_f64 v[22:23], s[30:31], v[24:25], v[20:21]
	v_mul_f64 v[28:29], v[26:27], s[30:31]
	v_fma_f64 v[20:21], v[24:25], s[30:31], -v[20:21]
	v_add_f64 v[6:7], v[30:31], v[6:7]
	v_fma_f64 v[30:31], s[34:35], v[16:17], v[28:29]
	v_add_f64 v[20:21], v[20:21], v[32:33]
	v_fmac_f64_e32 v[28:29], s[28:29], v[16:17]
	v_mul_f64 v[32:33], v[18:19], s[26:27]
	v_add_f64 v[22:23], v[22:23], v[34:35]
	v_add_f64 v[28:29], v[28:29], v[36:37]
	v_fma_f64 v[34:35], s[18:19], v[24:25], v[32:33]
	v_mul_f64 v[36:37], v[26:27], s[18:19]
	v_fma_f64 v[32:33], v[24:25], s[18:19], -v[32:33]
	v_add_f64 v[34:35], v[34:35], v[40:41]
	v_fma_f64 v[40:41], s[0:1], v[16:17], v[36:37]
	v_add_f64 v[32:33], v[32:33], v[38:39]
	v_fmac_f64_e32 v[36:37], s[26:27], v[16:17]
	v_mul_f64 v[38:39], v[18:19], s[20:21]
	v_add_f64 v[30:31], v[30:31], v[46:47]
	v_add_f64 v[36:37], v[36:37], v[42:43]
	v_fma_f64 v[42:43], s[22:23], v[24:25], v[38:39]
	v_mul_f64 v[46:47], v[26:27], s[22:23]
	v_add_f64 v[42:43], v[42:43], v[48:49]
	v_fma_f64 v[48:49], s[24:25], v[16:17], v[46:47]
	v_fma_f64 v[38:39], v[24:25], s[22:23], -v[38:39]
	v_fmac_f64_e32 v[46:47], s[20:21], v[16:17]
	v_add_f64 v[38:39], v[38:39], v[44:45]
	v_add_f64 v[44:45], v[46:47], v[50:51]
	v_mul_f64 v[46:47], v[18:19], s[36:37]
	v_add_f64 v[72:73], v[72:73], v[80:81]
	v_add_f64 v[74:75], v[74:75], v[82:83]
	;; [unrolled: 1-line block ×4, first 2 shown]
	v_fma_f64 v[50:51], s[38:39], v[24:25], v[46:47]
	v_mul_f64 v[52:53], v[26:27], s[38:39]
	v_fma_f64 v[46:47], v[24:25], s[38:39], -v[46:47]
	v_mul_f64 v[18:19], v[18:19], s[16:17]
	v_mul_f64 v[26:27], v[26:27], s[6:7]
	v_add_f64 v[70:71], v[70:71], v[78:79]
	v_add_f64 v[64:65], v[64:65], v[72:73]
	;; [unrolled: 1-line block ×6, first 2 shown]
	v_fma_f64 v[54:55], s[6:7], v[24:25], v[18:19]
	v_fma_f64 v[60:61], s[2:3], v[16:17], v[26:27]
	v_add_f64 v[72:73], v[10:11], -v[14:15]
	v_add_f64 v[62:63], v[62:63], v[70:71]
	v_add_f64 v[48:49], v[48:49], v[56:57]
	v_fma_f64 v[56:57], s[40:41], v[16:17], v[52:53]
	v_fmac_f64_e32 v[52:53], s[36:37], v[16:17]
	v_add_f64 v[54:55], v[54:55], v[66:67]
	v_add_f64 v[60:61], v[60:61], v[68:69]
	v_fma_f64 v[18:19], v[24:25], s[6:7], -v[18:19]
	v_add_f64 v[66:67], v[8:9], v[12:13]
	v_add_f64 v[68:69], v[10:11], v[14:15]
	v_add_f64 v[70:71], v[8:9], -v[12:13]
	v_mul_f64 v[8:9], v[72:73], s[36:37]
	v_add_f64 v[52:53], v[52:53], v[62:63]
	v_add_f64 v[62:63], v[18:19], v[4:5]
	v_fmac_f64_e32 v[26:27], s[16:17], v[16:17]
	v_fma_f64 v[4:5], s[38:39], v[66:67], v[8:9]
	v_fma_f64 v[8:9], v[66:67], s[38:39], -v[8:9]
	v_mul_f64 v[16:17], v[72:73], s[24:25]
	v_mul_f64 v[18:19], v[68:69], s[22:23]
	;; [unrolled: 1-line block ×4, first 2 shown]
	v_add_f64 v[8:9], v[8:9], v[20:21]
	v_fma_f64 v[12:13], s[22:23], v[66:67], v[16:17]
	v_fma_f64 v[14:15], s[20:21], v[70:71], v[18:19]
	v_fma_f64 v[16:17], v[66:67], s[22:23], -v[16:17]
	v_fma_f64 v[20:21], s[30:31], v[66:67], v[24:25]
	v_add_f64 v[56:57], v[56:57], v[64:65]
	v_add_f64 v[64:65], v[26:27], v[6:7]
	v_fma_f64 v[6:7], s[40:41], v[70:71], v[10:11]
	v_fmac_f64_e32 v[10:11], s[36:37], v[70:71]
	v_add_f64 v[12:13], v[12:13], v[34:35]
	v_add_f64 v[14:15], v[14:15], v[40:41]
	;; [unrolled: 1-line block ×3, first 2 shown]
	v_fmac_f64_e32 v[18:19], s[24:25], v[70:71]
	v_add_f64 v[20:21], v[20:21], v[42:43]
	v_mul_f64 v[26:27], v[68:69], s[30:31]
	v_fma_f64 v[24:25], v[66:67], s[30:31], -v[24:25]
	v_mul_f64 v[32:33], v[72:73], s[16:17]
	v_mul_f64 v[34:35], v[68:69], s[6:7]
	;; [unrolled: 1-line block ×4, first 2 shown]
	v_add_f64 v[4:5], v[4:5], v[22:23]
	v_add_f64 v[6:7], v[6:7], v[30:31]
	;; [unrolled: 1-line block ×4, first 2 shown]
	v_fma_f64 v[22:23], s[34:35], v[70:71], v[26:27]
	v_add_f64 v[24:25], v[24:25], v[38:39]
	v_fmac_f64_e32 v[26:27], s[28:29], v[70:71]
	v_fma_f64 v[28:29], s[6:7], v[66:67], v[32:33]
	v_fma_f64 v[30:31], s[2:3], v[70:71], v[34:35]
	v_fma_f64 v[32:33], v[66:67], s[6:7], -v[32:33]
	v_fmac_f64_e32 v[34:35], s[16:17], v[70:71]
	v_fma_f64 v[36:37], s[18:19], v[66:67], v[40:41]
	v_fma_f64 v[38:39], s[26:27], v[70:71], v[42:43]
	v_fma_f64 v[40:41], v[66:67], s[18:19], -v[40:41]
	v_fmac_f64_e32 v[42:43], s[0:1], v[70:71]
	v_add_f64 v[22:23], v[22:23], v[48:49]
	v_add_f64 v[26:27], v[26:27], v[44:45]
	;; [unrolled: 1-line block ×10, first 2 shown]
	ds_write_b128 v58, v[0:3]
	ds_write_b128 v58, v[4:7] offset:816
	ds_write_b128 v58, v[12:15] offset:1632
	;; [unrolled: 1-line block ×10, first 2 shown]
	s_and_b64 s[0:1], exec, s[4:5]
	v_accvgpr_read_b32 v24, a2
	s_waitcnt lgkmcnt(0)
	s_barrier
	s_mov_b64 exec, s[0:1]
	s_cbranch_execz .LBB0_23
; %bb.22:
	v_accvgpr_read_b32 v22, a0
	global_load_dwordx4 v[0:3], v22, s[12:13]
	v_mad_u64_u32 v[14:15], s[0:1], s10, v24, 0
	ds_read_b128 v[4:7], v58
	ds_read_b128 v[8:11], v58 offset:528
	v_accvgpr_read_b32 v26, a4
	v_mov_b32_e32 v18, v15
	v_mad_u64_u32 v[16:17], s[2:3], s8, v26, 0
	v_mad_u64_u32 v[18:19], s[2:3], s11, v24, v[18:19]
	v_mov_b32_e32 v12, s14
	v_mov_b32_e32 v13, s15
	;; [unrolled: 1-line block ×4, first 2 shown]
	s_mov_b32 s0, 0x4bc01d34
	v_mad_u64_u32 v[20:21], s[2:3], s9, v26, v[20:21]
	v_lshl_add_u64 v[12:13], v[14:15], 4, v[12:13]
	s_mov_b32 s1, 0x3f5d347a
	v_mov_b32_e32 v17, v20
	v_lshl_add_u64 v[12:13], v[16:17], 4, v[12:13]
	s_mul_i32 s2, s9, 0x210
	v_mov_b32_e32 v23, 0
	s_movk_i32 s3, 0x1000
	s_waitcnt vmcnt(0) lgkmcnt(1)
	v_mul_f64 v[14:15], v[6:7], v[2:3]
	v_mul_f64 v[2:3], v[4:5], v[2:3]
	v_fmac_f64_e32 v[14:15], v[4:5], v[0:1]
	v_fma_f64 v[2:3], v[0:1], v[6:7], -v[2:3]
	v_mul_f64 v[0:1], v[14:15], s[0:1]
	v_mul_f64 v[2:3], v[2:3], s[0:1]
	global_store_dwordx4 v[12:13], v[0:3], off
	global_load_dwordx4 v[0:3], v22, s[12:13] offset:528
	v_mov_b32_e32 v4, 0x210
	v_mad_u64_u32 v[14:15], s[4:5], s8, v4, v[12:13]
	v_add_u32_e32 v15, s2, v15
	s_waitcnt vmcnt(0) lgkmcnt(0)
	v_mul_f64 v[6:7], v[10:11], v[2:3]
	v_mul_f64 v[2:3], v[8:9], v[2:3]
	v_fmac_f64_e32 v[6:7], v[8:9], v[0:1]
	v_fma_f64 v[2:3], v[0:1], v[10:11], -v[2:3]
	v_mul_f64 v[0:1], v[6:7], s[0:1]
	v_mul_f64 v[2:3], v[2:3], s[0:1]
	global_store_dwordx4 v[14:15], v[0:3], off
	global_load_dwordx4 v[0:3], v22, s[12:13] offset:1056
	ds_read_b128 v[6:9], v58 offset:1056
	ds_read_b128 v[10:13], v58 offset:1584
	v_mad_u64_u32 v[14:15], s[4:5], s8, v4, v[14:15]
	v_add_u32_e32 v15, s2, v15
	s_waitcnt vmcnt(0) lgkmcnt(1)
	v_mul_f64 v[16:17], v[8:9], v[2:3]
	v_mul_f64 v[2:3], v[6:7], v[2:3]
	v_fmac_f64_e32 v[16:17], v[6:7], v[0:1]
	v_fma_f64 v[2:3], v[0:1], v[8:9], -v[2:3]
	v_mul_f64 v[0:1], v[16:17], s[0:1]
	v_mul_f64 v[2:3], v[2:3], s[0:1]
	global_store_dwordx4 v[14:15], v[0:3], off
	global_load_dwordx4 v[0:3], v22, s[12:13] offset:1584
	v_mad_u64_u32 v[14:15], s[4:5], s8, v4, v[14:15]
	v_add_u32_e32 v15, s2, v15
	s_waitcnt vmcnt(0) lgkmcnt(0)
	v_mul_f64 v[6:7], v[12:13], v[2:3]
	v_mul_f64 v[2:3], v[10:11], v[2:3]
	v_fmac_f64_e32 v[6:7], v[10:11], v[0:1]
	v_fma_f64 v[2:3], v[0:1], v[12:13], -v[2:3]
	v_mul_f64 v[0:1], v[6:7], s[0:1]
	v_mul_f64 v[2:3], v[2:3], s[0:1]
	global_store_dwordx4 v[14:15], v[0:3], off
	global_load_dwordx4 v[0:3], v22, s[12:13] offset:2112
	ds_read_b128 v[6:9], v58 offset:2112
	ds_read_b128 v[10:13], v58 offset:2640
	v_mad_u64_u32 v[14:15], s[4:5], s8, v4, v[14:15]
	v_add_u32_e32 v15, s2, v15
	s_waitcnt vmcnt(0) lgkmcnt(1)
	v_mul_f64 v[16:17], v[8:9], v[2:3]
	v_mul_f64 v[2:3], v[6:7], v[2:3]
	v_fmac_f64_e32 v[16:17], v[6:7], v[0:1]
	v_fma_f64 v[2:3], v[0:1], v[8:9], -v[2:3]
	v_mul_f64 v[0:1], v[16:17], s[0:1]
	v_mul_f64 v[2:3], v[2:3], s[0:1]
	global_store_dwordx4 v[14:15], v[0:3], off
	global_load_dwordx4 v[0:3], v22, s[12:13] offset:2640
	v_mad_u64_u32 v[14:15], s[4:5], s8, v4, v[14:15]
	v_add_u32_e32 v15, s2, v15
	s_waitcnt vmcnt(0) lgkmcnt(0)
	v_mul_f64 v[6:7], v[12:13], v[2:3]
	v_mul_f64 v[2:3], v[10:11], v[2:3]
	v_fmac_f64_e32 v[6:7], v[10:11], v[0:1]
	v_fma_f64 v[2:3], v[0:1], v[12:13], -v[2:3]
	v_mul_f64 v[0:1], v[6:7], s[0:1]
	v_mul_f64 v[2:3], v[2:3], s[0:1]
	global_store_dwordx4 v[14:15], v[0:3], off
	global_load_dwordx4 v[0:3], v22, s[12:13] offset:3168
	ds_read_b128 v[6:9], v58 offset:3168
	ds_read_b128 v[10:13], v58 offset:3696
	v_mad_u64_u32 v[14:15], s[4:5], s8, v4, v[14:15]
	v_add_u32_e32 v15, s2, v15
	v_mad_u64_u32 v[18:19], s[4:5], s8, v4, v[14:15]
	v_add_u32_e32 v19, s2, v19
	s_waitcnt vmcnt(0) lgkmcnt(1)
	v_mul_f64 v[16:17], v[8:9], v[2:3]
	v_mul_f64 v[2:3], v[6:7], v[2:3]
	v_fmac_f64_e32 v[16:17], v[6:7], v[0:1]
	v_fma_f64 v[2:3], v[0:1], v[8:9], -v[2:3]
	v_mul_f64 v[0:1], v[16:17], s[0:1]
	v_mul_f64 v[2:3], v[2:3], s[0:1]
	global_store_dwordx4 v[14:15], v[0:3], off
	global_load_dwordx4 v[6:9], v22, s[12:13] offset:3696
	s_waitcnt vmcnt(0) lgkmcnt(0)
	v_mul_f64 v[14:15], v[12:13], v[8:9]
	v_mul_f64 v[8:9], v[10:11], v[8:9]
	v_lshl_add_u64 v[0:1], s[12:13], 0, v[22:23]
	v_fmac_f64_e32 v[14:15], v[10:11], v[6:7]
	v_fma_f64 v[8:9], v[6:7], v[12:13], -v[8:9]
	v_add_co_u32_e32 v2, vcc, s3, v0
	v_mul_f64 v[6:7], v[14:15], s[0:1]
	v_mul_f64 v[8:9], v[8:9], s[0:1]
	v_addc_co_u32_e32 v3, vcc, 0, v1, vcc
	global_store_dwordx4 v[18:19], v[6:9], off
	global_load_dwordx4 v[6:9], v[2:3], off offset:128
	ds_read_b128 v[10:13], v58 offset:4224
	ds_read_b128 v[14:17], v58 offset:4752
	v_mad_u64_u32 v[18:19], s[4:5], s8, v4, v[18:19]
	v_add_u32_e32 v19, s2, v19
	s_movk_i32 s3, 0x2000
	s_waitcnt vmcnt(0) lgkmcnt(1)
	v_mul_f64 v[20:21], v[12:13], v[8:9]
	v_mul_f64 v[8:9], v[10:11], v[8:9]
	v_fmac_f64_e32 v[20:21], v[10:11], v[6:7]
	v_fma_f64 v[8:9], v[6:7], v[12:13], -v[8:9]
	v_mul_f64 v[6:7], v[20:21], s[0:1]
	v_mul_f64 v[8:9], v[8:9], s[0:1]
	global_store_dwordx4 v[18:19], v[6:9], off
	global_load_dwordx4 v[6:9], v[2:3], off offset:656
	v_mad_u64_u32 v[18:19], s[4:5], s8, v4, v[18:19]
	v_add_u32_e32 v19, s2, v19
	s_waitcnt vmcnt(0) lgkmcnt(0)
	v_mul_f64 v[10:11], v[16:17], v[8:9]
	v_mul_f64 v[8:9], v[14:15], v[8:9]
	v_fmac_f64_e32 v[10:11], v[14:15], v[6:7]
	v_fma_f64 v[8:9], v[6:7], v[16:17], -v[8:9]
	v_mul_f64 v[6:7], v[10:11], s[0:1]
	v_mul_f64 v[8:9], v[8:9], s[0:1]
	global_store_dwordx4 v[18:19], v[6:9], off
	global_load_dwordx4 v[6:9], v[2:3], off offset:1184
	ds_read_b128 v[10:13], v58 offset:5280
	ds_read_b128 v[14:17], v58 offset:5808
	v_mad_u64_u32 v[18:19], s[4:5], s8, v4, v[18:19]
	v_add_u32_e32 v19, s2, v19
	s_waitcnt vmcnt(0) lgkmcnt(1)
	v_mul_f64 v[20:21], v[12:13], v[8:9]
	v_mul_f64 v[8:9], v[10:11], v[8:9]
	v_fmac_f64_e32 v[20:21], v[10:11], v[6:7]
	v_fma_f64 v[8:9], v[6:7], v[12:13], -v[8:9]
	v_mul_f64 v[6:7], v[20:21], s[0:1]
	v_mul_f64 v[8:9], v[8:9], s[0:1]
	global_store_dwordx4 v[18:19], v[6:9], off
	global_load_dwordx4 v[6:9], v[2:3], off offset:1712
	v_mad_u64_u32 v[18:19], s[4:5], s8, v4, v[18:19]
	v_add_u32_e32 v19, s2, v19
	s_waitcnt vmcnt(0) lgkmcnt(0)
	v_mul_f64 v[10:11], v[16:17], v[8:9]
	v_mul_f64 v[8:9], v[14:15], v[8:9]
	v_fmac_f64_e32 v[10:11], v[14:15], v[6:7]
	v_fma_f64 v[8:9], v[6:7], v[16:17], -v[8:9]
	v_mul_f64 v[6:7], v[10:11], s[0:1]
	v_mul_f64 v[8:9], v[8:9], s[0:1]
	global_store_dwordx4 v[18:19], v[6:9], off
	global_load_dwordx4 v[6:9], v[2:3], off offset:2240
	ds_read_b128 v[10:13], v58 offset:6336
	ds_read_b128 v[14:17], v58 offset:6864
	v_mad_u64_u32 v[18:19], s[4:5], s8, v4, v[18:19]
	v_add_u32_e32 v19, s2, v19
	;; [unrolled: 24-line block ×3, first 2 shown]
	s_waitcnt vmcnt(0) lgkmcnt(1)
	v_mul_f64 v[20:21], v[12:13], v[8:9]
	v_mul_f64 v[8:9], v[10:11], v[8:9]
	v_fmac_f64_e32 v[20:21], v[10:11], v[6:7]
	v_fma_f64 v[8:9], v[6:7], v[12:13], -v[8:9]
	v_mul_f64 v[6:7], v[20:21], s[0:1]
	v_mul_f64 v[8:9], v[8:9], s[0:1]
	global_store_dwordx4 v[18:19], v[6:9], off
	global_load_dwordx4 v[6:9], v[2:3], off offset:3824
	v_add_co_u32_e32 v10, vcc, s3, v0
	v_mad_u64_u32 v[12:13], s[4:5], s8, v4, v[18:19]
	s_nop 0
	v_addc_co_u32_e32 v11, vcc, 0, v1, vcc
	v_add_u32_e32 v13, s2, v13
	v_mad_u64_u32 v[4:5], s[4:5], s8, v4, v[12:13]
	v_add_u32_e32 v5, s2, v5
	s_waitcnt vmcnt(0) lgkmcnt(0)
	v_mul_f64 v[0:1], v[16:17], v[8:9]
	v_mul_f64 v[2:3], v[14:15], v[8:9]
	v_fmac_f64_e32 v[0:1], v[14:15], v[6:7]
	v_fma_f64 v[2:3], v[6:7], v[16:17], -v[2:3]
	v_mul_f64 v[0:1], v[0:1], s[0:1]
	v_mul_f64 v[2:3], v[2:3], s[0:1]
	global_store_dwordx4 v[12:13], v[0:3], off
	global_load_dwordx4 v[0:3], v[10:11], off offset:256
	ds_read_b128 v[6:9], v58 offset:8448
	s_waitcnt vmcnt(0) lgkmcnt(0)
	v_mul_f64 v[10:11], v[8:9], v[2:3]
	v_mul_f64 v[2:3], v[6:7], v[2:3]
	v_fmac_f64_e32 v[10:11], v[6:7], v[0:1]
	v_fma_f64 v[2:3], v[0:1], v[8:9], -v[2:3]
	v_mul_f64 v[0:1], v[10:11], s[0:1]
	v_mul_f64 v[2:3], v[2:3], s[0:1]
	global_store_dwordx4 v[4:5], v[0:3], off
.LBB0_23:
	s_endpgm
	.section	.rodata,"a",@progbits
	.p2align	6, 0x0
	.amdhsa_kernel bluestein_single_fwd_len561_dim1_dp_op_CI_CI
		.amdhsa_group_segment_fixed_size 44880
		.amdhsa_private_segment_fixed_size 0
		.amdhsa_kernarg_size 104
		.amdhsa_user_sgpr_count 2
		.amdhsa_user_sgpr_dispatch_ptr 0
		.amdhsa_user_sgpr_queue_ptr 0
		.amdhsa_user_sgpr_kernarg_segment_ptr 1
		.amdhsa_user_sgpr_dispatch_id 0
		.amdhsa_user_sgpr_kernarg_preload_length 0
		.amdhsa_user_sgpr_kernarg_preload_offset 0
		.amdhsa_user_sgpr_private_segment_size 0
		.amdhsa_uses_dynamic_stack 0
		.amdhsa_enable_private_segment 0
		.amdhsa_system_sgpr_workgroup_id_x 1
		.amdhsa_system_sgpr_workgroup_id_y 0
		.amdhsa_system_sgpr_workgroup_id_z 0
		.amdhsa_system_sgpr_workgroup_info 0
		.amdhsa_system_vgpr_workitem_id 0
		.amdhsa_next_free_vgpr 402
		.amdhsa_next_free_sgpr 62
		.amdhsa_accum_offset 256
		.amdhsa_reserve_vcc 1
		.amdhsa_float_round_mode_32 0
		.amdhsa_float_round_mode_16_64 0
		.amdhsa_float_denorm_mode_32 3
		.amdhsa_float_denorm_mode_16_64 3
		.amdhsa_dx10_clamp 1
		.amdhsa_ieee_mode 1
		.amdhsa_fp16_overflow 0
		.amdhsa_tg_split 0
		.amdhsa_exception_fp_ieee_invalid_op 0
		.amdhsa_exception_fp_denorm_src 0
		.amdhsa_exception_fp_ieee_div_zero 0
		.amdhsa_exception_fp_ieee_overflow 0
		.amdhsa_exception_fp_ieee_underflow 0
		.amdhsa_exception_fp_ieee_inexact 0
		.amdhsa_exception_int_div_zero 0
	.end_amdhsa_kernel
	.text
.Lfunc_end0:
	.size	bluestein_single_fwd_len561_dim1_dp_op_CI_CI, .Lfunc_end0-bluestein_single_fwd_len561_dim1_dp_op_CI_CI
                                        ; -- End function
	.section	.AMDGPU.csdata,"",@progbits
; Kernel info:
; codeLenInByte = 29748
; NumSgprs: 68
; NumVgprs: 256
; NumAgprs: 146
; TotalNumVgprs: 402
; ScratchSize: 0
; MemoryBound: 0
; FloatMode: 240
; IeeeMode: 1
; LDSByteSize: 44880 bytes/workgroup (compile time only)
; SGPRBlocks: 8
; VGPRBlocks: 50
; NumSGPRsForWavesPerEU: 68
; NumVGPRsForWavesPerEU: 402
; AccumOffset: 256
; Occupancy: 1
; WaveLimiterHint : 1
; COMPUTE_PGM_RSRC2:SCRATCH_EN: 0
; COMPUTE_PGM_RSRC2:USER_SGPR: 2
; COMPUTE_PGM_RSRC2:TRAP_HANDLER: 0
; COMPUTE_PGM_RSRC2:TGID_X_EN: 1
; COMPUTE_PGM_RSRC2:TGID_Y_EN: 0
; COMPUTE_PGM_RSRC2:TGID_Z_EN: 0
; COMPUTE_PGM_RSRC2:TIDIG_COMP_CNT: 0
; COMPUTE_PGM_RSRC3_GFX90A:ACCUM_OFFSET: 63
; COMPUTE_PGM_RSRC3_GFX90A:TG_SPLIT: 0
	.text
	.p2alignl 6, 3212836864
	.fill 256, 4, 3212836864
	.type	__hip_cuid_3791f70704986b14,@object ; @__hip_cuid_3791f70704986b14
	.section	.bss,"aw",@nobits
	.globl	__hip_cuid_3791f70704986b14
__hip_cuid_3791f70704986b14:
	.byte	0                               ; 0x0
	.size	__hip_cuid_3791f70704986b14, 1

	.ident	"AMD clang version 19.0.0git (https://github.com/RadeonOpenCompute/llvm-project roc-6.4.0 25133 c7fe45cf4b819c5991fe208aaa96edf142730f1d)"
	.section	".note.GNU-stack","",@progbits
	.addrsig
	.addrsig_sym __hip_cuid_3791f70704986b14
	.amdgpu_metadata
---
amdhsa.kernels:
  - .agpr_count:     146
    .args:
      - .actual_access:  read_only
        .address_space:  global
        .offset:         0
        .size:           8
        .value_kind:     global_buffer
      - .actual_access:  read_only
        .address_space:  global
        .offset:         8
        .size:           8
        .value_kind:     global_buffer
      - .actual_access:  read_only
        .address_space:  global
        .offset:         16
        .size:           8
        .value_kind:     global_buffer
      - .actual_access:  read_only
        .address_space:  global
        .offset:         24
        .size:           8
        .value_kind:     global_buffer
      - .actual_access:  read_only
        .address_space:  global
        .offset:         32
        .size:           8
        .value_kind:     global_buffer
      - .offset:         40
        .size:           8
        .value_kind:     by_value
      - .address_space:  global
        .offset:         48
        .size:           8
        .value_kind:     global_buffer
      - .address_space:  global
        .offset:         56
        .size:           8
        .value_kind:     global_buffer
      - .address_space:  global
        .offset:         64
        .size:           8
        .value_kind:     global_buffer
      - .address_space:  global
        .offset:         72
        .size:           8
        .value_kind:     global_buffer
      - .offset:         80
        .size:           4
        .value_kind:     by_value
      - .address_space:  global
        .offset:         88
        .size:           8
        .value_kind:     global_buffer
      - .address_space:  global
        .offset:         96
        .size:           8
        .value_kind:     global_buffer
    .group_segment_fixed_size: 44880
    .kernarg_segment_align: 8
    .kernarg_segment_size: 104
    .language:       OpenCL C
    .language_version:
      - 2
      - 0
    .max_flat_workgroup_size: 255
    .name:           bluestein_single_fwd_len561_dim1_dp_op_CI_CI
    .private_segment_fixed_size: 0
    .sgpr_count:     68
    .sgpr_spill_count: 0
    .symbol:         bluestein_single_fwd_len561_dim1_dp_op_CI_CI.kd
    .uniform_work_group_size: 1
    .uses_dynamic_stack: false
    .vgpr_count:     402
    .vgpr_spill_count: 0
    .wavefront_size: 64
amdhsa.target:   amdgcn-amd-amdhsa--gfx950
amdhsa.version:
  - 1
  - 2
...

	.end_amdgpu_metadata
